;; amdgpu-corpus repo=ROCm/rocFFT kind=compiled arch=gfx906 opt=O3
	.text
	.amdgcn_target "amdgcn-amd-amdhsa--gfx906"
	.amdhsa_code_object_version 6
	.protected	fft_rtc_back_len1088_factors_17_4_4_2_2_wgs_204_tpt_68_halfLds_sp_ip_CI_sbrr_dirReg ; -- Begin function fft_rtc_back_len1088_factors_17_4_4_2_2_wgs_204_tpt_68_halfLds_sp_ip_CI_sbrr_dirReg
	.globl	fft_rtc_back_len1088_factors_17_4_4_2_2_wgs_204_tpt_68_halfLds_sp_ip_CI_sbrr_dirReg
	.p2align	8
	.type	fft_rtc_back_len1088_factors_17_4_4_2_2_wgs_204_tpt_68_halfLds_sp_ip_CI_sbrr_dirReg,@function
fft_rtc_back_len1088_factors_17_4_4_2_2_wgs_204_tpt_68_halfLds_sp_ip_CI_sbrr_dirReg: ; @fft_rtc_back_len1088_factors_17_4_4_2_2_wgs_204_tpt_68_halfLds_sp_ip_CI_sbrr_dirReg
; %bb.0:
	s_load_dwordx2 s[2:3], s[4:5], 0x18
	s_load_dwordx4 s[8:11], s[4:5], 0x0
	s_load_dwordx2 s[14:15], s[4:5], 0x50
	v_mul_u32_u24_e32 v1, 0x3c4, v0
	v_lshrrev_b32_e32 v1, 16, v1
	s_waitcnt lgkmcnt(0)
	s_load_dwordx2 s[12:13], s[2:3], 0x0
	v_mad_u64_u32 v[1:2], s[0:1], s6, 3, v[1:2]
	v_mov_b32_e32 v5, 0
	v_cmp_lt_u64_e64 s[0:1], s[10:11], 2
	v_mov_b32_e32 v2, v5
	v_mov_b32_e32 v3, 0
	;; [unrolled: 1-line block ×3, first 2 shown]
	s_and_b64 vcc, exec, s[0:1]
	v_mov_b32_e32 v4, 0
	v_mov_b32_e32 v9, v1
	s_cbranch_vccnz .LBB0_8
; %bb.1:
	s_load_dwordx2 s[0:1], s[4:5], 0x10
	s_add_u32 s6, s2, 8
	s_addc_u32 s7, s3, 0
	v_mov_b32_e32 v3, 0
	v_mov_b32_e32 v8, v2
	s_waitcnt lgkmcnt(0)
	s_add_u32 s18, s0, 8
	s_mov_b64 s[16:17], 1
	v_mov_b32_e32 v4, 0
	s_addc_u32 s19, s1, 0
	v_mov_b32_e32 v7, v1
.LBB0_2:                                ; =>This Inner Loop Header: Depth=1
	s_load_dwordx2 s[20:21], s[18:19], 0x0
                                        ; implicit-def: $vgpr9_vgpr10
	s_waitcnt lgkmcnt(0)
	v_or_b32_e32 v6, s21, v8
	v_cmp_ne_u64_e32 vcc, 0, v[5:6]
	s_and_saveexec_b64 s[0:1], vcc
	s_xor_b64 s[22:23], exec, s[0:1]
	s_cbranch_execz .LBB0_4
; %bb.3:                                ;   in Loop: Header=BB0_2 Depth=1
	v_cvt_f32_u32_e32 v2, s20
	v_cvt_f32_u32_e32 v6, s21
	s_sub_u32 s0, 0, s20
	s_subb_u32 s1, 0, s21
	v_mac_f32_e32 v2, 0x4f800000, v6
	v_rcp_f32_e32 v2, v2
	v_mul_f32_e32 v2, 0x5f7ffffc, v2
	v_mul_f32_e32 v6, 0x2f800000, v2
	v_trunc_f32_e32 v6, v6
	v_mac_f32_e32 v2, 0xcf800000, v6
	v_cvt_u32_f32_e32 v6, v6
	v_cvt_u32_f32_e32 v2, v2
	v_mul_lo_u32 v9, s0, v6
	v_mul_hi_u32 v10, s0, v2
	v_mul_lo_u32 v12, s1, v2
	v_mul_lo_u32 v11, s0, v2
	v_add_u32_e32 v9, v10, v9
	v_add_u32_e32 v9, v9, v12
	v_mul_hi_u32 v10, v2, v11
	v_mul_lo_u32 v12, v2, v9
	v_mul_hi_u32 v14, v2, v9
	v_mul_hi_u32 v13, v6, v11
	v_mul_lo_u32 v11, v6, v11
	v_mul_hi_u32 v15, v6, v9
	v_add_co_u32_e32 v10, vcc, v10, v12
	v_addc_co_u32_e32 v12, vcc, 0, v14, vcc
	v_mul_lo_u32 v9, v6, v9
	v_add_co_u32_e32 v10, vcc, v10, v11
	v_addc_co_u32_e32 v10, vcc, v12, v13, vcc
	v_addc_co_u32_e32 v11, vcc, 0, v15, vcc
	v_add_co_u32_e32 v9, vcc, v10, v9
	v_addc_co_u32_e32 v10, vcc, 0, v11, vcc
	v_add_co_u32_e32 v2, vcc, v2, v9
	v_addc_co_u32_e32 v6, vcc, v6, v10, vcc
	v_mul_lo_u32 v9, s0, v6
	v_mul_hi_u32 v10, s0, v2
	v_mul_lo_u32 v11, s1, v2
	v_mul_lo_u32 v12, s0, v2
	v_add_u32_e32 v9, v10, v9
	v_add_u32_e32 v9, v9, v11
	v_mul_lo_u32 v13, v2, v9
	v_mul_hi_u32 v14, v2, v12
	v_mul_hi_u32 v15, v2, v9
	;; [unrolled: 1-line block ×3, first 2 shown]
	v_mul_lo_u32 v12, v6, v12
	v_mul_hi_u32 v10, v6, v9
	v_add_co_u32_e32 v13, vcc, v14, v13
	v_addc_co_u32_e32 v14, vcc, 0, v15, vcc
	v_mul_lo_u32 v9, v6, v9
	v_add_co_u32_e32 v12, vcc, v13, v12
	v_addc_co_u32_e32 v11, vcc, v14, v11, vcc
	v_addc_co_u32_e32 v10, vcc, 0, v10, vcc
	v_add_co_u32_e32 v9, vcc, v11, v9
	v_addc_co_u32_e32 v10, vcc, 0, v10, vcc
	v_add_co_u32_e32 v2, vcc, v2, v9
	v_addc_co_u32_e32 v6, vcc, v6, v10, vcc
	v_mad_u64_u32 v[9:10], s[0:1], v7, v6, 0
	v_mul_hi_u32 v11, v7, v2
	v_add_co_u32_e32 v13, vcc, v11, v9
	v_addc_co_u32_e32 v14, vcc, 0, v10, vcc
	v_mad_u64_u32 v[9:10], s[0:1], v8, v2, 0
	v_mad_u64_u32 v[11:12], s[0:1], v8, v6, 0
	v_add_co_u32_e32 v2, vcc, v13, v9
	v_addc_co_u32_e32 v2, vcc, v14, v10, vcc
	v_addc_co_u32_e32 v6, vcc, 0, v12, vcc
	v_add_co_u32_e32 v2, vcc, v2, v11
	v_addc_co_u32_e32 v6, vcc, 0, v6, vcc
	v_mul_lo_u32 v11, s21, v2
	v_mul_lo_u32 v12, s20, v6
	v_mad_u64_u32 v[9:10], s[0:1], s20, v2, 0
	v_add3_u32 v10, v10, v12, v11
	v_sub_u32_e32 v11, v8, v10
	v_mov_b32_e32 v12, s21
	v_sub_co_u32_e32 v9, vcc, v7, v9
	v_subb_co_u32_e64 v11, s[0:1], v11, v12, vcc
	v_subrev_co_u32_e64 v12, s[0:1], s20, v9
	v_subbrev_co_u32_e64 v11, s[0:1], 0, v11, s[0:1]
	v_cmp_le_u32_e64 s[0:1], s21, v11
	v_cndmask_b32_e64 v13, 0, -1, s[0:1]
	v_cmp_le_u32_e64 s[0:1], s20, v12
	v_cndmask_b32_e64 v12, 0, -1, s[0:1]
	v_cmp_eq_u32_e64 s[0:1], s21, v11
	v_cndmask_b32_e64 v11, v13, v12, s[0:1]
	v_add_co_u32_e64 v12, s[0:1], 2, v2
	v_addc_co_u32_e64 v13, s[0:1], 0, v6, s[0:1]
	v_add_co_u32_e64 v14, s[0:1], 1, v2
	v_addc_co_u32_e64 v15, s[0:1], 0, v6, s[0:1]
	v_subb_co_u32_e32 v10, vcc, v8, v10, vcc
	v_cmp_ne_u32_e64 s[0:1], 0, v11
	v_cmp_le_u32_e32 vcc, s21, v10
	v_cndmask_b32_e64 v11, v15, v13, s[0:1]
	v_cndmask_b32_e64 v13, 0, -1, vcc
	v_cmp_le_u32_e32 vcc, s20, v9
	v_cndmask_b32_e64 v9, 0, -1, vcc
	v_cmp_eq_u32_e32 vcc, s21, v10
	v_cndmask_b32_e32 v9, v13, v9, vcc
	v_cmp_ne_u32_e32 vcc, 0, v9
	v_cndmask_b32_e32 v10, v6, v11, vcc
	v_cndmask_b32_e64 v6, v14, v12, s[0:1]
	v_cndmask_b32_e32 v9, v2, v6, vcc
.LBB0_4:                                ;   in Loop: Header=BB0_2 Depth=1
	s_andn2_saveexec_b64 s[0:1], s[22:23]
	s_cbranch_execz .LBB0_6
; %bb.5:                                ;   in Loop: Header=BB0_2 Depth=1
	v_cvt_f32_u32_e32 v2, s20
	s_sub_i32 s22, 0, s20
	v_rcp_iflag_f32_e32 v2, v2
	v_mul_f32_e32 v2, 0x4f7ffffe, v2
	v_cvt_u32_f32_e32 v2, v2
	v_mul_lo_u32 v6, s22, v2
	v_mul_hi_u32 v6, v2, v6
	v_add_u32_e32 v2, v2, v6
	v_mul_hi_u32 v2, v7, v2
	v_mul_lo_u32 v6, v2, s20
	v_add_u32_e32 v9, 1, v2
	v_sub_u32_e32 v6, v7, v6
	v_subrev_u32_e32 v10, s20, v6
	v_cmp_le_u32_e32 vcc, s20, v6
	v_cndmask_b32_e32 v6, v6, v10, vcc
	v_cndmask_b32_e32 v2, v2, v9, vcc
	v_add_u32_e32 v9, 1, v2
	v_cmp_le_u32_e32 vcc, s20, v6
	v_cndmask_b32_e32 v9, v2, v9, vcc
	v_mov_b32_e32 v10, v5
.LBB0_6:                                ;   in Loop: Header=BB0_2 Depth=1
	s_or_b64 exec, exec, s[0:1]
	v_mul_lo_u32 v2, v10, s20
	v_mul_lo_u32 v6, v9, s21
	v_mad_u64_u32 v[11:12], s[0:1], v9, s20, 0
	s_load_dwordx2 s[0:1], s[6:7], 0x0
	s_add_u32 s16, s16, 1
	v_add3_u32 v2, v12, v6, v2
	v_sub_co_u32_e32 v6, vcc, v7, v11
	v_subb_co_u32_e32 v2, vcc, v8, v2, vcc
	s_waitcnt lgkmcnt(0)
	v_mul_lo_u32 v2, s0, v2
	v_mul_lo_u32 v7, s1, v6
	v_mad_u64_u32 v[3:4], s[0:1], s0, v6, v[3:4]
	s_addc_u32 s17, s17, 0
	s_add_u32 s6, s6, 8
	v_add3_u32 v4, v7, v4, v2
	v_mov_b32_e32 v6, s10
	v_mov_b32_e32 v7, s11
	s_addc_u32 s7, s7, 0
	v_cmp_ge_u64_e32 vcc, s[16:17], v[6:7]
	s_add_u32 s18, s18, 8
	s_addc_u32 s19, s19, 0
	s_cbranch_vccnz .LBB0_8
; %bb.7:                                ;   in Loop: Header=BB0_2 Depth=1
	v_mov_b32_e32 v7, v9
	v_mov_b32_e32 v8, v10
	s_branch .LBB0_2
.LBB0_8:
	s_lshl_b64 s[0:1], s[10:11], 3
	s_add_u32 s0, s2, s0
	s_addc_u32 s1, s3, s1
	s_load_dwordx2 s[2:3], s[0:1], 0x0
	s_load_dwordx2 s[6:7], s[4:5], 0x20
	v_mov_b32_e32 v29, 0
	v_mov_b32_e32 v28, 0
                                        ; implicit-def: $vgpr35
                                        ; implicit-def: $vgpr31
                                        ; implicit-def: $vgpr25
                                        ; implicit-def: $vgpr21
                                        ; implicit-def: $vgpr17
                                        ; implicit-def: $vgpr13
                                        ; implicit-def: $vgpr7
                                        ; implicit-def: $vgpr11
                                        ; implicit-def: $vgpr19
                                        ; implicit-def: $vgpr23
                                        ; implicit-def: $vgpr27
                                        ; implicit-def: $vgpr37
                                        ; implicit-def: $vgpr33
                                        ; implicit-def: $vgpr15
	s_waitcnt lgkmcnt(0)
	v_mad_u64_u32 v[2:3], s[0:1], s2, v9, v[3:4]
	s_mov_b32 s0, 0x3c3c3c4
	v_mul_hi_u32 v4, v0, s0
	v_mul_lo_u32 v5, s2, v10
	v_mul_lo_u32 v6, s3, v9
	v_cmp_gt_u64_e32 vcc, s[6:7], v[9:10]
	v_mul_u32_u24_e32 v4, 0x44, v4
	v_sub_u32_e32 v0, v0, v4
	v_add3_u32 v3, v6, v3, v5
	v_cmp_gt_u32_e64 s[0:1], 64, v0
	v_lshlrev_b64 v[2:3], 3, v[2:3]
	s_and_b64 s[2:3], vcc, s[0:1]
                                        ; implicit-def: $vgpr9
                                        ; implicit-def: $vgpr5
	s_and_saveexec_b64 s[4:5], s[2:3]
	s_cbranch_execz .LBB0_10
; %bb.9:
	v_mad_u64_u32 v[4:5], s[2:3], s12, v0, 0
	v_or_b32_e32 v9, 64, v0
	v_mov_b32_e32 v8, s15
	v_mad_u64_u32 v[5:6], s[2:3], s13, v0, v[5:6]
	v_mad_u64_u32 v[6:7], s[2:3], s12, v9, 0
	v_add_co_u32_e64 v12, s[2:3], s14, v2
	v_addc_co_u32_e64 v13, s[2:3], v8, v3, s[2:3]
	v_mad_u64_u32 v[7:8], s[2:3], s13, v9, v[7:8]
	v_or_b32_e32 v10, 0x80, v0
	v_mad_u64_u32 v[8:9], s[2:3], s12, v10, 0
	v_lshlrev_b64 v[4:5], 3, v[4:5]
	v_add_co_u32_e64 v32, s[2:3], v12, v4
	v_addc_co_u32_e64 v33, s[2:3], v13, v5, s[2:3]
	v_lshlrev_b64 v[4:5], 3, v[6:7]
	v_mov_b32_e32 v6, v9
	v_mad_u64_u32 v[6:7], s[2:3], s13, v10, v[6:7]
	v_or_b32_e32 v7, 0xc0, v0
	v_mad_u64_u32 v[10:11], s[2:3], s12, v7, 0
	v_add_co_u32_e64 v36, s[2:3], v12, v4
	v_mov_b32_e32 v9, v6
	v_mov_b32_e32 v6, v11
	v_addc_co_u32_e64 v37, s[2:3], v13, v5, s[2:3]
	v_lshlrev_b64 v[4:5], 3, v[8:9]
	v_mad_u64_u32 v[6:7], s[2:3], s13, v7, v[6:7]
	v_or_b32_e32 v9, 0x100, v0
	v_mad_u64_u32 v[7:8], s[2:3], s12, v9, 0
	v_add_co_u32_e64 v38, s[2:3], v12, v4
	v_mov_b32_e32 v11, v6
	v_mov_b32_e32 v6, v8
	v_addc_co_u32_e64 v39, s[2:3], v13, v5, s[2:3]
	v_lshlrev_b64 v[4:5], 3, v[10:11]
	v_mad_u64_u32 v[8:9], s[2:3], s13, v9, v[6:7]
	v_or_b32_e32 v11, 0x140, v0
	v_mad_u64_u32 v[9:10], s[2:3], s12, v11, 0
	v_add_co_u32_e64 v40, s[2:3], v12, v4
	v_mov_b32_e32 v6, v10
	v_addc_co_u32_e64 v41, s[2:3], v13, v5, s[2:3]
	v_lshlrev_b64 v[4:5], 3, v[7:8]
	v_mad_u64_u32 v[6:7], s[2:3], s13, v11, v[6:7]
	v_or_b32_e32 v11, 0x180, v0
	v_mad_u64_u32 v[7:8], s[2:3], s12, v11, 0
	v_add_co_u32_e64 v42, s[2:3], v12, v4
	v_mov_b32_e32 v10, v6
	v_mov_b32_e32 v6, v8
	v_addc_co_u32_e64 v43, s[2:3], v13, v5, s[2:3]
	v_lshlrev_b64 v[4:5], 3, v[9:10]
	v_mad_u64_u32 v[8:9], s[2:3], s13, v11, v[6:7]
	v_or_b32_e32 v11, 0x1c0, v0
	v_mad_u64_u32 v[9:10], s[2:3], s12, v11, 0
	v_add_co_u32_e64 v44, s[2:3], v12, v4
	;; [unrolled: 15-line block ×6, first 2 shown]
	v_mov_b32_e32 v6, v10
	v_addc_co_u32_e64 v61, s[2:3], v13, v5, s[2:3]
	v_lshlrev_b64 v[4:5], 3, v[7:8]
	v_mad_u64_u32 v[6:7], s[2:3], s13, v11, v[6:7]
	v_or_b32_e32 v11, 0x400, v0
	v_mad_u64_u32 v[7:8], s[2:3], s12, v11, 0
	v_add_co_u32_e64 v62, s[2:3], v12, v4
	v_mov_b32_e32 v10, v6
	v_mov_b32_e32 v6, v8
	v_addc_co_u32_e64 v63, s[2:3], v13, v5, s[2:3]
	v_lshlrev_b64 v[4:5], 3, v[9:10]
	v_mad_u64_u32 v[8:9], s[2:3], s13, v11, v[6:7]
	v_add_co_u32_e64 v64, s[2:3], v12, v4
	v_addc_co_u32_e64 v65, s[2:3], v13, v5, s[2:3]
	v_lshlrev_b64 v[4:5], 3, v[7:8]
	v_add_co_u32_e64 v66, s[2:3], v12, v4
	v_addc_co_u32_e64 v67, s[2:3], v13, v5, s[2:3]
	global_load_dwordx2 v[28:29], v[32:33], off
	global_load_dwordx2 v[34:35], v[36:37], off
	;; [unrolled: 1-line block ×15, first 2 shown]
                                        ; kill: killed $vgpr58 killed $vgpr59
                                        ; kill: killed $vgpr48 killed $vgpr49
                                        ; kill: killed $vgpr38 killed $vgpr39
                                        ; kill: killed $vgpr62 killed $vgpr63
                                        ; kill: killed $vgpr52 killed $vgpr53
                                        ; kill: killed $vgpr42 killed $vgpr43
                                        ; kill: killed $vgpr56 killed $vgpr57
                                        ; kill: killed $vgpr46 killed $vgpr47
                                        ; kill: killed $vgpr36 killed $vgpr37
                                        ; kill: killed $vgpr60 killed $vgpr61
                                        ; kill: killed $vgpr50 killed $vgpr51
                                        ; kill: killed $vgpr40 killed $vgpr41
                                        ; kill: killed $vgpr54 killed $vgpr55
                                        ; kill: killed $vgpr44 killed $vgpr45
                                        ; kill: killed $vgpr32 killed $vgpr33
	global_load_dwordx2 v[32:33], v[64:65], off
	global_load_dwordx2 v[36:37], v[66:67], off
.LBB0_10:
	s_or_b64 exec, exec, s[4:5]
	s_mov_b32 s2, 0xaaaaaaab
	v_mul_hi_u32 v38, v1, s2
	v_lshrrev_b32_e32 v38, 1, v38
	v_lshl_add_u32 v38, v38, 1, v38
	v_sub_u32_e32 v1, v1, v38
	v_mul_u32_u24_e32 v1, 0x440, v1
	v_lshlrev_b32_e32 v1, 2, v1
	s_and_saveexec_b64 s[2:3], s[0:1]
	s_cbranch_execz .LBB0_12
; %bb.11:
	s_waitcnt vmcnt(0)
	v_add_f32_e32 v43, v34, v36
	v_sub_f32_e32 v38, v35, v37
	v_add_f32_e32 v44, v30, v32
	v_mul_f32_e32 v48, 0x3f6eb680, v43
	v_sub_f32_e32 v39, v31, v33
	v_add_f32_e32 v45, v24, v26
	v_mov_b32_e32 v53, v48
	v_mul_f32_e32 v49, 0x3f3d2fb0, v44
	v_fmac_f32_e32 v48, 0xbeb8f4ab, v38
	v_sub_f32_e32 v40, v25, v27
	v_add_f32_e32 v46, v20, v22
	v_mov_b32_e32 v54, v49
	v_mul_f32_e32 v50, 0x3ee437d1, v45
	v_add_f32_e32 v48, v28, v48
	v_fmac_f32_e32 v49, 0xbf2c7751, v39
	v_sub_f32_e32 v41, v21, v23
	v_mov_b32_e32 v55, v50
	v_add_f32_e32 v48, v48, v49
	v_mul_f32_e32 v49, 0x3dbcf732, v46
	v_fmac_f32_e32 v50, 0xbf65296c, v40
	v_add_f32_e32 v47, v16, v18
	v_add_f32_e32 v48, v50, v48
	v_mov_b32_e32 v56, v49
	v_fmac_f32_e32 v49, 0xbf7ee86f, v41
	v_sub_f32_e32 v42, v17, v19
	v_add_f32_e32 v48, v49, v48
	v_mul_f32_e32 v49, 0xbe8c1d8e, v47
	v_mov_b32_e32 v57, v49
	v_fmac_f32_e32 v49, 0xbf763a35, v42
	v_add_f32_e32 v58, v12, v14
	v_add_f32_e32 v48, v49, v48
	v_sub_f32_e32 v59, v13, v15
	v_mul_f32_e32 v49, 0xbf1a4643, v58
	v_mov_b32_e32 v60, v49
	v_fmac_f32_e32 v49, 0xbf4c4adb, v59
	v_add_f32_e32 v61, v8, v10
	v_add_f32_e32 v48, v49, v48
	v_sub_f32_e32 v62, v9, v11
	v_mul_f32_e32 v49, 0xbf59a7d5, v61
	v_mov_b32_e32 v63, v49
	v_fmac_f32_e32 v49, 0xbf06c442, v62
	v_add_f32_e32 v64, v4, v6
	v_add_f32_e32 v48, v49, v48
	v_sub_f32_e32 v65, v5, v7
	v_mul_f32_e32 v49, 0xbf7ba420, v64
	v_mov_b32_e32 v66, v49
	v_fmac_f32_e32 v49, 0xbe3c28d5, v65
	v_add_f32_e32 v49, v49, v48
	v_add_f32_e32 v48, v28, v34
	;; [unrolled: 1-line block ×17, first 2 shown]
	v_mul_u32_u24_e32 v48, 0x44, v0
	v_add3_u32 v48, 0, v48, v1
	ds_write2_b32 v48, v50, v49 offset1:1
	v_mul_f32_e32 v50, 0xbf7ba420, v43
	v_mov_b32_e32 v49, v50
	v_mul_f32_e32 v51, 0x3f6eb680, v44
	v_fmac_f32_e32 v49, 0x3e3c28d5, v38
	v_mov_b32_e32 v52, v51
	v_add_f32_e32 v49, v28, v49
	v_fmac_f32_e32 v52, 0xbeb8f4ab, v39
	v_add_f32_e32 v49, v49, v52
	v_mul_f32_e32 v52, 0xbf59a7d5, v45
	v_mov_b32_e32 v67, v52
	v_fmac_f32_e32 v67, 0x3f06c442, v40
	v_add_f32_e32 v49, v67, v49
	v_mul_f32_e32 v67, 0x3f3d2fb0, v46
	v_mov_b32_e32 v68, v67
	;; [unrolled: 4-line block ×3, first 2 shown]
	v_fmac_f32_e32 v69, 0x3f4c4adb, v42
	v_add_f32_e32 v49, v69, v49
	v_mul_f32_e32 v69, 0x3ee437d1, v58
	v_fmac_f32_e32 v50, 0xbe3c28d5, v38
	v_mov_b32_e32 v70, v69
	v_add_f32_e32 v50, v28, v50
	v_fmac_f32_e32 v51, 0x3eb8f4ab, v39
	v_fmac_f32_e32 v70, 0xbf65296c, v59
	v_add_f32_e32 v50, v50, v51
	v_fmac_f32_e32 v52, 0xbf06c442, v40
	v_add_f32_e32 v49, v70, v49
	v_mul_f32_e32 v70, 0xbe8c1d8e, v61
	v_add_f32_e32 v50, v52, v50
	v_fmac_f32_e32 v67, 0x3f2c7751, v41
	v_mov_b32_e32 v71, v70
	v_add_f32_e32 v50, v67, v50
	v_fmac_f32_e32 v68, 0xbf4c4adb, v42
	v_fmac_f32_e32 v71, 0x3f763a35, v62
	v_add_f32_e32 v50, v68, v50
	v_fmac_f32_e32 v69, 0x3f65296c, v59
	v_add_f32_e32 v49, v71, v49
	v_mul_f32_e32 v71, 0x3dbcf732, v64
	v_add_f32_e32 v50, v69, v50
	v_fmac_f32_e32 v70, 0xbf763a35, v62
	v_mov_b32_e32 v72, v71
	v_add_f32_e32 v50, v70, v50
	v_fmac_f32_e32 v71, 0x3f7ee86f, v65
	v_mul_f32_e32 v52, 0xbf59a7d5, v43
	v_add_f32_e32 v51, v71, v50
	v_mov_b32_e32 v50, v52
	v_mul_f32_e32 v67, 0x3ee437d1, v44
	v_fmac_f32_e32 v50, 0x3f06c442, v38
	v_mov_b32_e32 v68, v67
	v_add_f32_e32 v50, v28, v50
	v_fmac_f32_e32 v68, 0xbf65296c, v39
	v_add_f32_e32 v50, v50, v68
	v_mul_f32_e32 v68, 0x3dbcf732, v45
	v_mov_b32_e32 v69, v68
	v_fmac_f32_e32 v69, 0x3f7ee86f, v40
	v_add_f32_e32 v50, v69, v50
	v_mul_f32_e32 v69, 0xbf1a4643, v46
	v_mov_b32_e32 v70, v69
	;; [unrolled: 4-line block ×3, first 2 shown]
	v_fmac_f32_e32 v71, 0x3eb8f4ab, v42
	v_fmac_f32_e32 v72, 0xbf7ee86f, v65
	v_add_f32_e32 v50, v71, v50
	v_mul_f32_e32 v71, 0xbf7ba420, v58
	v_fmac_f32_e32 v52, 0xbf06c442, v38
	v_add_f32_e32 v49, v72, v49
	v_mov_b32_e32 v72, v71
	v_add_f32_e32 v52, v28, v52
	v_fmac_f32_e32 v67, 0x3f65296c, v39
	v_fmac_f32_e32 v72, 0x3e3c28d5, v59
	v_add_f32_e32 v52, v52, v67
	v_fmac_f32_e32 v68, 0xbf7ee86f, v40
	v_add_f32_e32 v50, v72, v50
	v_mul_f32_e32 v72, 0x3f3d2fb0, v61
	v_add_f32_e32 v52, v68, v52
	v_fmac_f32_e32 v69, 0x3f4c4adb, v41
	v_mov_b32_e32 v73, v72
	v_add_f32_e32 v52, v69, v52
	v_fmac_f32_e32 v70, 0xbeb8f4ab, v42
	v_fmac_f32_e32 v73, 0xbf2c7751, v62
	v_add_f32_e32 v52, v70, v52
	v_fmac_f32_e32 v71, 0xbe3c28d5, v59
	v_add_f32_e32 v50, v73, v50
	v_mul_f32_e32 v73, 0xbe8c1d8e, v64
	v_add_f32_e32 v52, v71, v52
	v_fmac_f32_e32 v72, 0x3f2c7751, v62
	v_mov_b32_e32 v74, v73
	v_add_f32_e32 v52, v72, v52
	v_fmac_f32_e32 v73, 0xbf763a35, v65
	v_add_f32_e32 v67, v73, v52
	v_mul_f32_e32 v52, 0xbf1a4643, v43
	v_mov_b32_e32 v68, v52
	v_mul_f32_e32 v69, 0xbe8c1d8e, v44
	v_fmac_f32_e32 v68, 0x3f4c4adb, v38
	v_mov_b32_e32 v70, v69
	v_add_f32_e32 v68, v28, v68
	v_fmac_f32_e32 v70, 0xbf763a35, v39
	v_add_f32_e32 v68, v68, v70
	v_mul_f32_e32 v70, 0x3f6eb680, v45
	v_mov_b32_e32 v71, v70
	v_fmac_f32_e32 v71, 0x3eb8f4ab, v40
	v_add_f32_e32 v68, v71, v68
	v_mul_f32_e32 v71, 0xbf59a7d5, v46
	v_mov_b32_e32 v72, v71
	v_fmac_f32_e32 v72, 0x3f06c442, v41
	v_add_f32_e32 v68, v72, v68
	v_mul_f32_e32 v72, 0x3dbcf732, v47
	v_mov_b32_e32 v73, v72
	v_fmac_f32_e32 v73, 0xbf7ee86f, v42
	v_fmac_f32_e32 v74, 0x3f763a35, v65
	v_add_f32_e32 v68, v73, v68
	v_mul_f32_e32 v73, 0x3f3d2fb0, v58
	v_fmac_f32_e32 v52, 0xbf4c4adb, v38
	v_add_f32_e32 v50, v74, v50
	v_mov_b32_e32 v74, v73
	v_add_f32_e32 v52, v28, v52
	v_fmac_f32_e32 v69, 0x3f763a35, v39
	v_fmac_f32_e32 v74, 0x3f2c7751, v59
	v_add_f32_e32 v52, v52, v69
	v_fmac_f32_e32 v70, 0xbeb8f4ab, v40
	v_add_f32_e32 v68, v74, v68
	v_mul_f32_e32 v74, 0xbf7ba420, v61
	v_add_f32_e32 v52, v70, v52
	v_fmac_f32_e32 v71, 0xbf06c442, v41
	v_mov_b32_e32 v75, v74
	v_add_f32_e32 v52, v71, v52
	v_fmac_f32_e32 v72, 0x3f7ee86f, v42
	v_fmac_f32_e32 v75, 0x3e3c28d5, v62
	v_add_f32_e32 v52, v72, v52
	v_fmac_f32_e32 v73, 0xbf2c7751, v59
	v_add_f32_e32 v68, v75, v68
	v_mul_f32_e32 v75, 0x3ee437d1, v64
	v_add_f32_e32 v52, v73, v52
	v_fmac_f32_e32 v74, 0xbe3c28d5, v62
	v_mov_b32_e32 v76, v75
	v_add_f32_e32 v52, v74, v52
	v_fmac_f32_e32 v75, 0x3f65296c, v65
	v_mul_f32_e32 v70, 0xbe8c1d8e, v43
	v_add_f32_e32 v69, v75, v52
	v_mov_b32_e32 v52, v70
	v_mul_f32_e32 v71, 0xbf59a7d5, v44
	v_fmac_f32_e32 v52, 0x3f763a35, v38
	v_mov_b32_e32 v72, v71
	v_add_f32_e32 v52, v28, v52
	v_fmac_f32_e32 v72, 0xbf06c442, v39
	v_add_f32_e32 v52, v52, v72
	v_mul_f32_e32 v72, 0x3f3d2fb0, v45
	v_mov_b32_e32 v73, v72
	v_fmac_f32_e32 v73, 0xbf2c7751, v40
	v_add_f32_e32 v52, v73, v52
	v_mul_f32_e32 v73, 0x3ee437d1, v46
	v_fmac_f32_e32 v70, 0xbf763a35, v38
	v_mov_b32_e32 v74, v73
	v_add_f32_e32 v70, v28, v70
	v_fmac_f32_e32 v71, 0x3f06c442, v39
	v_fmac_f32_e32 v74, 0x3f65296c, v41
	v_add_f32_e32 v70, v70, v71
	v_fmac_f32_e32 v72, 0x3f2c7751, v40
	v_add_f32_e32 v52, v74, v52
	v_mul_f32_e32 v74, 0xbf7ba420, v47
	v_add_f32_e32 v70, v72, v70
	v_fmac_f32_e32 v73, 0xbf65296c, v41
	v_mul_f32_e32 v71, 0x3dbcf732, v43
	v_mov_b32_e32 v75, v74
	v_add_f32_e32 v70, v73, v70
	v_fmac_f32_e32 v74, 0xbe3c28d5, v42
	v_mov_b32_e32 v72, v71
	v_mul_f32_e32 v73, 0xbf7ba420, v44
	v_fmac_f32_e32 v75, 0x3e3c28d5, v42
	v_add_f32_e32 v70, v74, v70
	v_fmac_f32_e32 v72, 0x3f7ee86f, v38
	v_mov_b32_e32 v74, v73
	v_fmac_f32_e32 v76, 0xbf65296c, v65
	v_add_f32_e32 v52, v75, v52
	v_mul_f32_e32 v75, 0x3dbcf732, v58
	v_add_f32_e32 v72, v28, v72
	v_fmac_f32_e32 v74, 0x3e3c28d5, v39
	v_add_f32_e32 v68, v76, v68
	v_mov_b32_e32 v76, v75
	v_fmac_f32_e32 v75, 0x3f7ee86f, v59
	v_add_f32_e32 v72, v72, v74
	v_mul_f32_e32 v74, 0xbe8c1d8e, v45
	v_fmac_f32_e32 v76, 0xbf7ee86f, v59
	v_add_f32_e32 v70, v75, v70
	v_mov_b32_e32 v75, v74
	v_add_f32_e32 v52, v76, v52
	v_mul_f32_e32 v76, 0x3f6eb680, v61
	v_fmac_f32_e32 v75, 0xbf763a35, v40
	v_mov_b32_e32 v77, v76
	v_fmac_f32_e32 v76, 0xbeb8f4ab, v62
	v_add_f32_e32 v72, v75, v72
	v_mul_f32_e32 v75, 0x3f6eb680, v46
	v_fmac_f32_e32 v71, 0xbf7ee86f, v38
	v_fmac_f32_e32 v77, 0x3eb8f4ab, v62
	v_add_f32_e32 v70, v76, v70
	v_mov_b32_e32 v76, v75
	v_add_f32_e32 v71, v28, v71
	v_fmac_f32_e32 v73, 0xbe3c28d5, v39
	v_add_f32_e32 v52, v77, v52
	v_mul_f32_e32 v77, 0xbf1a4643, v64
	v_fmac_f32_e32 v76, 0xbeb8f4ab, v41
	v_add_f32_e32 v71, v71, v73
	v_fmac_f32_e32 v74, 0x3f763a35, v40
	v_mov_b32_e32 v78, v77
	v_fmac_f32_e32 v77, 0xbf4c4adb, v65
	v_add_f32_e32 v72, v76, v72
	v_mul_f32_e32 v76, 0x3ee437d1, v47
	v_add_f32_e32 v71, v74, v71
	v_fmac_f32_e32 v75, 0x3eb8f4ab, v41
	v_mul_f32_e32 v73, 0x3ee437d1, v43
	v_add_f32_e32 v70, v77, v70
	v_mov_b32_e32 v77, v76
	v_add_f32_e32 v71, v75, v71
	v_fmac_f32_e32 v76, 0xbf65296c, v42
	v_mov_b32_e32 v74, v73
	v_mul_f32_e32 v75, 0xbf1a4643, v44
	v_fmac_f32_e32 v77, 0x3f65296c, v42
	v_add_f32_e32 v71, v76, v71
	v_fmac_f32_e32 v74, 0x3f65296c, v38
	v_mov_b32_e32 v76, v75
	v_fmac_f32_e32 v78, 0x3f4c4adb, v65
	v_add_f32_e32 v72, v77, v72
	v_mul_f32_e32 v77, 0xbf59a7d5, v58
	v_add_f32_e32 v74, v28, v74
	v_fmac_f32_e32 v76, 0x3f4c4adb, v39
	v_add_f32_e32 v52, v78, v52
	v_mov_b32_e32 v78, v77
	v_fmac_f32_e32 v77, 0xbf06c442, v59
	v_add_f32_e32 v74, v74, v76
	v_mul_f32_e32 v76, 0xbf7ba420, v45
	v_fmac_f32_e32 v78, 0x3f06c442, v59
	v_add_f32_e32 v71, v77, v71
	v_mov_b32_e32 v77, v76
	v_fmac_f32_e32 v73, 0xbf65296c, v38
	v_add_f32_e32 v72, v78, v72
	v_mul_f32_e32 v78, 0xbf1a4643, v61
	v_fmac_f32_e32 v77, 0xbe3c28d5, v40
	v_add_f32_e32 v73, v28, v73
	v_fmac_f32_e32 v75, 0xbf4c4adb, v39
	v_mul_f32_e32 v43, 0x3f3d2fb0, v43
	v_mov_b32_e32 v79, v78
	v_fmac_f32_e32 v78, 0x3f4c4adb, v62
	v_add_f32_e32 v74, v77, v74
	v_mul_f32_e32 v77, 0xbe8c1d8e, v46
	v_add_f32_e32 v73, v73, v75
	v_fmac_f32_e32 v76, 0x3e3c28d5, v40
	v_mov_b32_e32 v75, v43
	v_mul_f32_e32 v44, 0x3dbcf732, v44
	v_fmac_f32_e32 v79, 0xbf4c4adb, v62
	v_add_f32_e32 v71, v78, v71
	v_mov_b32_e32 v78, v77
	v_add_f32_e32 v73, v76, v73
	v_fmac_f32_e32 v75, 0x3f2c7751, v38
	v_mov_b32_e32 v76, v44
	v_add_f32_e32 v72, v79, v72
	v_mul_f32_e32 v79, 0x3f3d2fb0, v64
	v_fmac_f32_e32 v78, 0xbf763a35, v41
	v_add_f32_e32 v75, v28, v75
	v_fmac_f32_e32 v76, 0x3f7ee86f, v39
	v_mul_f32_e32 v45, 0xbf1a4643, v45
	v_mov_b32_e32 v80, v79
	v_fmac_f32_e32 v79, 0x3f2c7751, v65
	v_add_f32_e32 v74, v78, v74
	v_mul_f32_e32 v78, 0x3f3d2fb0, v47
	v_add_f32_e32 v75, v75, v76
	v_mov_b32_e32 v76, v45
	v_add_f32_e32 v71, v79, v71
	v_mov_b32_e32 v79, v78
	v_fmac_f32_e32 v76, 0x3f4c4adb, v40
	v_mul_f32_e32 v46, 0xbf7ba420, v46
	v_fmac_f32_e32 v79, 0xbf2c7751, v42
	v_add_f32_e32 v75, v76, v75
	v_mov_b32_e32 v76, v46
	v_fmac_f32_e32 v80, 0xbf2c7751, v65
	v_add_f32_e32 v74, v79, v74
	v_mul_f32_e32 v79, 0x3f6eb680, v58
	v_fmac_f32_e32 v76, 0x3e3c28d5, v41
	v_mul_f32_e32 v47, 0xbf59a7d5, v47
	v_fmac_f32_e32 v43, 0xbf2c7751, v38
	v_add_f32_e32 v72, v80, v72
	v_mov_b32_e32 v80, v79
	v_add_f32_e32 v75, v76, v75
	v_mov_b32_e32 v76, v47
	v_add_f32_e32 v43, v28, v43
	v_fmac_f32_e32 v44, 0xbf7ee86f, v39
	v_fmac_f32_e32 v53, 0x3eb8f4ab, v38
	;; [unrolled: 1-line block ×4, first 2 shown]
	v_mul_f32_e32 v58, 0xbe8c1d8e, v58
	v_add_f32_e32 v43, v43, v44
	v_fmac_f32_e32 v45, 0xbf4c4adb, v40
	v_fmac_f32_e32 v54, 0x3f2c7751, v39
	v_add_f32_e32 v28, v28, v53
	v_add_f32_e32 v74, v80, v74
	v_mul_f32_e32 v80, 0x3dbcf732, v61
	v_fmac_f32_e32 v77, 0x3f763a35, v41
	v_add_f32_e32 v75, v76, v75
	v_mov_b32_e32 v76, v58
	v_add_f32_e32 v43, v45, v43
	v_fmac_f32_e32 v46, 0xbe3c28d5, v41
	v_add_f32_e32 v28, v28, v54
	v_fmac_f32_e32 v55, 0x3f65296c, v40
	v_mov_b32_e32 v81, v80
	v_add_f32_e32 v73, v77, v73
	v_fmac_f32_e32 v78, 0x3f2c7751, v42
	v_fmac_f32_e32 v76, 0xbf763a35, v59
	v_mul_f32_e32 v61, 0x3ee437d1, v61
	v_add_f32_e32 v43, v46, v43
	v_fmac_f32_e32 v47, 0x3f06c442, v42
	v_add_f32_e32 v28, v55, v28
	v_fmac_f32_e32 v56, 0x3f7ee86f, v41
	v_fmac_f32_e32 v81, 0x3f7ee86f, v62
	v_add_f32_e32 v73, v78, v73
	v_fmac_f32_e32 v79, 0xbeb8f4ab, v59
	v_add_f32_e32 v75, v76, v75
	v_mov_b32_e32 v76, v61
	v_add_f32_e32 v43, v47, v43
	v_fmac_f32_e32 v58, 0x3f763a35, v59
	v_add_f32_e32 v28, v56, v28
	v_fmac_f32_e32 v57, 0x3f763a35, v42
	v_add_f32_e32 v74, v81, v74
	v_mul_f32_e32 v81, 0xbf59a7d5, v64
	v_add_f32_e32 v73, v79, v73
	v_fmac_f32_e32 v80, 0xbf7ee86f, v62
	v_fmac_f32_e32 v76, 0xbf65296c, v62
	v_mul_f32_e32 v64, 0x3f6eb680, v64
	v_add_f32_e32 v43, v58, v43
	v_fmac_f32_e32 v61, 0x3f65296c, v62
	v_add_f32_e32 v28, v57, v28
	v_fmac_f32_e32 v60, 0x3f4c4adb, v59
	v_mov_b32_e32 v82, v81
	v_add_f32_e32 v73, v80, v73
	v_fmac_f32_e32 v81, 0xbf06c442, v65
	v_add_f32_e32 v75, v76, v75
	v_mov_b32_e32 v76, v64
	v_add_f32_e32 v43, v61, v43
	v_fmac_f32_e32 v64, 0x3eb8f4ab, v65
	v_add_f32_e32 v28, v60, v28
	v_fmac_f32_e32 v63, 0x3f06c442, v62
	v_fmac_f32_e32 v82, 0x3f06c442, v65
	v_add_f32_e32 v73, v81, v73
	v_fmac_f32_e32 v76, 0xbeb8f4ab, v65
	v_add_f32_e32 v43, v64, v43
	v_add_f32_e32 v28, v63, v28
	v_fmac_f32_e32 v66, 0x3e3c28d5, v65
	v_add_f32_e32 v74, v82, v74
	v_add_f32_e32 v75, v76, v75
	;; [unrolled: 1-line block ×3, first 2 shown]
	ds_write2_b32 v48, v43, v73 offset0:2 offset1:3
	ds_write2_b32 v48, v71, v70 offset0:4 offset1:5
	;; [unrolled: 1-line block ×7, first 2 shown]
	ds_write_b32 v48, v28 offset:64
.LBB0_12:
	s_or_b64 exec, exec, s[2:3]
	s_waitcnt vmcnt(16)
	v_lshlrev_b32_e32 v28, 2, v0
	v_add_u32_e32 v61, 0, v28
	v_add3_u32 v52, 0, v1, v28
	v_add_u32_e32 v28, v61, v1
	v_add_u32_e32 v56, 0x200, v28
	;; [unrolled: 1-line block ×7, first 2 shown]
	s_waitcnt vmcnt(0) lgkmcnt(0)
	s_barrier
	ds_read2_b32 v[38:39], v56 offset0:76 offset1:144
	ds_read2_b32 v[44:45], v58 offset0:92 offset1:160
	;; [unrolled: 1-line block ×7, first 2 shown]
	ds_read_b32 v59, v52
	ds_read_b32 v60, v28 offset:4080
	s_waitcnt lgkmcnt(0)
	s_barrier
	s_and_saveexec_b64 s[2:3], s[0:1]
	s_cbranch_execz .LBB0_14
; %bb.13:
	v_add_f32_e32 v62, v29, v35
	v_add_f32_e32 v62, v62, v31
	;; [unrolled: 1-line block ×14, first 2 shown]
	v_sub_f32_e32 v34, v34, v36
	v_add_f32_e32 v62, v33, v62
	v_add_f32_e32 v35, v35, v37
	v_mul_f32_e32 v36, 0xbeb8f4ab, v34
	s_mov_b32 s6, 0x3f6eb680
	v_mul_f32_e32 v63, 0xbf2c7751, v34
	s_mov_b32 s4, 0x3f3d2fb0
	v_mul_f32_e32 v65, 0xbf65296c, v34
	s_mov_b32 s1, 0x3ee437d1
	v_mul_f32_e32 v67, 0xbf7ee86f, v34
	s_mov_b32 s0, 0x3dbcf732
	v_mul_f32_e32 v69, 0xbf763a35, v34
	s_mov_b32 s5, 0xbe8c1d8e
	v_mul_f32_e32 v71, 0xbf4c4adb, v34
	s_mov_b32 s7, 0xbf1a4643
	v_mul_f32_e32 v73, 0xbf06c442, v34
	s_mov_b32 s10, 0xbf59a7d5
	v_mul_f32_e32 v34, 0xbe3c28d5, v34
	s_mov_b32 s11, 0xbf7ba420
	v_sub_f32_e32 v30, v30, v32
	v_add_f32_e32 v62, v37, v62
	v_fma_f32 v37, v35, s6, -v36
	v_fmac_f32_e32 v36, 0x3f6eb680, v35
	v_fma_f32 v64, v35, s4, -v63
	v_fmac_f32_e32 v63, 0x3f3d2fb0, v35
	;; [unrolled: 2-line block ×8, first 2 shown]
	v_add_f32_e32 v31, v31, v33
	v_mul_f32_e32 v32, 0xbf2c7751, v30
	v_add_f32_e32 v37, v29, v37
	v_add_f32_e32 v36, v29, v36
	;; [unrolled: 1-line block ×16, first 2 shown]
	v_fma_f32 v33, v31, s4, -v32
	v_fmac_f32_e32 v32, 0x3f3d2fb0, v31
	v_mul_f32_e32 v34, 0xbf7ee86f, v30
	v_add_f32_e32 v32, v36, v32
	v_fma_f32 v35, v31, s0, -v34
	v_fmac_f32_e32 v34, 0x3dbcf732, v31
	v_mul_f32_e32 v36, 0xbf4c4adb, v30
	v_add_f32_e32 v33, v37, v33
	v_add_f32_e32 v34, v63, v34
	v_fma_f32 v37, v31, s7, -v36
	v_fmac_f32_e32 v36, 0xbf1a4643, v31
	v_mul_f32_e32 v63, 0xbe3c28d5, v30
	v_add_f32_e32 v35, v64, v35
	;; [unrolled: 5-line block ×4, first 2 shown]
	v_add_f32_e32 v65, v69, v65
	v_fma_f32 v68, v31, s5, -v67
	v_fmac_f32_e32 v67, 0xbe8c1d8e, v31
	v_mul_f32_e32 v69, 0x3f65296c, v30
	v_mul_f32_e32 v30, 0x3eb8f4ab, v30
	v_sub_f32_e32 v24, v24, v26
	v_add_f32_e32 v67, v71, v67
	v_fma_f32 v71, v31, s6, -v30
	v_fmac_f32_e32 v30, 0x3f6eb680, v31
	v_add_f32_e32 v25, v25, v27
	v_mul_f32_e32 v26, 0xbf65296c, v24
	v_add_f32_e32 v29, v29, v30
	v_fma_f32 v27, v25, s1, -v26
	v_fmac_f32_e32 v26, 0x3ee437d1, v25
	v_mul_f32_e32 v30, 0xbf4c4adb, v24
	v_add_f32_e32 v66, v70, v66
	v_fma_f32 v70, v31, s1, -v69
	v_fmac_f32_e32 v69, 0x3ee437d1, v31
	v_add_f32_e32 v26, v26, v32
	v_fma_f32 v31, v25, s7, -v30
	v_fmac_f32_e32 v30, 0xbf1a4643, v25
	v_mul_f32_e32 v32, 0x3e3c28d5, v24
	v_add_f32_e32 v27, v27, v33
	v_add_f32_e32 v30, v30, v34
	v_fma_f32 v33, v25, s11, -v32
	v_fmac_f32_e32 v32, 0xbf7ba420, v25
	v_mul_f32_e32 v34, 0x3f763a35, v24
	v_add_f32_e32 v31, v31, v35
	v_add_f32_e32 v32, v32, v36
	v_fma_f32 v35, v25, s5, -v34
	v_fmac_f32_e32 v34, 0xbe8c1d8e, v25
	v_mul_f32_e32 v36, 0x3f2c7751, v24
	v_add_f32_e32 v33, v33, v37
	v_add_f32_e32 v34, v34, v63
	v_fma_f32 v37, v25, s4, -v36
	v_fmac_f32_e32 v36, 0x3f3d2fb0, v25
	v_mul_f32_e32 v63, 0xbeb8f4ab, v24
	v_sub_f32_e32 v20, v20, v22
	v_add_f32_e32 v35, v35, v64
	v_add_f32_e32 v36, v36, v65
	v_fma_f32 v64, v25, s6, -v63
	v_fmac_f32_e32 v63, 0x3f6eb680, v25
	v_mul_f32_e32 v65, 0xbf7ee86f, v24
	v_mul_f32_e32 v24, 0xbf06c442, v24
	v_add_f32_e32 v21, v21, v23
	v_mul_f32_e32 v22, 0xbf7ee86f, v20
	v_add_f32_e32 v37, v37, v66
	v_add_f32_e32 v63, v63, v67
	v_fma_f32 v66, v25, s0, -v65
	v_fmac_f32_e32 v65, 0x3dbcf732, v25
	v_fma_f32 v67, v25, s10, -v24
	v_fmac_f32_e32 v24, 0xbf59a7d5, v25
	v_fma_f32 v23, v21, s0, -v22
	v_fmac_f32_e32 v22, 0x3dbcf732, v21
	v_mul_f32_e32 v25, 0xbe3c28d5, v20
	v_add_f32_e32 v23, v23, v27
	v_add_f32_e32 v22, v22, v26
	v_fma_f32 v26, v21, s11, -v25
	v_fmac_f32_e32 v25, 0xbf7ba420, v21
	v_mul_f32_e32 v27, 0x3f763a35, v20
	v_add_f32_e32 v24, v24, v29
	v_add_f32_e32 v25, v25, v30
	v_fma_f32 v29, v21, s5, -v27
	v_fmac_f32_e32 v27, 0xbe8c1d8e, v21
	v_mul_f32_e32 v30, 0x3eb8f4ab, v20
	v_add_f32_e32 v26, v26, v31
	v_add_f32_e32 v27, v27, v32
	v_fma_f32 v31, v21, s6, -v30
	v_fmac_f32_e32 v30, 0x3f6eb680, v21
	v_mul_f32_e32 v32, 0xbf65296c, v20
	v_add_f32_e32 v29, v29, v33
	v_add_f32_e32 v30, v30, v34
	v_fma_f32 v33, v21, s1, -v32
	v_fmac_f32_e32 v32, 0x3ee437d1, v21
	v_mul_f32_e32 v34, 0xbf06c442, v20
	v_sub_f32_e32 v16, v16, v18
	v_add_f32_e32 v31, v31, v35
	v_add_f32_e32 v32, v32, v36
	v_fma_f32 v35, v21, s10, -v34
	v_fmac_f32_e32 v34, 0xbf59a7d5, v21
	v_mul_f32_e32 v36, 0x3f4c4adb, v20
	v_mul_f32_e32 v20, 0x3f2c7751, v20
	v_add_f32_e32 v17, v17, v19
	v_mul_f32_e32 v18, 0xbf763a35, v16
	v_add_f32_e32 v33, v33, v37
	v_add_f32_e32 v34, v34, v63
	v_fma_f32 v37, v21, s7, -v36
	v_fmac_f32_e32 v36, 0xbf1a4643, v21
	v_fma_f32 v63, v21, s4, -v20
	v_fmac_f32_e32 v20, 0x3f3d2fb0, v21
	v_fma_f32 v19, v17, s5, -v18
	v_fmac_f32_e32 v18, 0xbe8c1d8e, v17
	v_mul_f32_e32 v21, 0x3f06c442, v16
	v_add_f32_e32 v19, v19, v23
	;; [unrolled: 38-line block ×5, first 2 shown]
	v_add_f32_e32 v6, v6, v10
	v_fma_f32 v10, v5, s6, -v9
	v_fmac_f32_e32 v9, 0x3f6eb680, v5
	v_mul_f32_e32 v11, 0xbf06c442, v4
	v_add_f32_e32 v68, v72, v68
	v_add_f32_e32 v70, v74, v70
	v_add_f32_e32 v69, v73, v69
	v_add_f32_e32 v71, v75, v71
	v_add_f32_e32 v8, v8, v12
	v_add_f32_e32 v9, v9, v13
	v_fma_f32 v12, v5, s10, -v11
	v_fmac_f32_e32 v11, 0xbf59a7d5, v5
	v_mul_f32_e32 v13, 0x3f2c7751, v4
	v_add_f32_e32 v64, v64, v68
	v_add_f32_e32 v66, v66, v70
	v_add_f32_e32 v65, v65, v69
	v_add_f32_e32 v67, v67, v71
	v_add_f32_e32 v10, v10, v14
	;; [unrolled: 9-line block ×4, first 2 shown]
	v_add_f32_e32 v15, v15, v19
	v_fma_f32 v18, v5, s1, -v17
	v_fmac_f32_e32 v17, 0x3ee437d1, v5
	v_mul_f32_e32 v19, 0xbf763a35, v4
	v_mul_f32_e32 v4, 0x3f7ee86f, v4
	v_add_f32_e32 v26, v26, v31
	v_add_f32_e32 v29, v29, v33
	;; [unrolled: 1-line block ×6, first 2 shown]
	v_fma_f32 v20, v5, s5, -v19
	v_fmac_f32_e32 v19, 0xbe8c1d8e, v5
	v_fma_f32 v21, v5, s0, -v4
	v_fmac_f32_e32 v4, 0x3dbcf732, v5
	v_lshlrev_b32_e32 v5, 6, v0
	v_add_f32_e32 v22, v22, v26
	v_add_f32_e32 v24, v24, v29
	v_add_f32_e32 v23, v23, v27
	v_add_f32_e32 v25, v25, v30
	v_add3_u32 v5, v61, v5, v1
	v_add_f32_e32 v18, v18, v22
	v_add_f32_e32 v20, v20, v24
	;; [unrolled: 1-line block ×5, first 2 shown]
	ds_write2_b32 v5, v62, v7 offset1:1
	ds_write2_b32 v5, v10, v12 offset0:2 offset1:3
	ds_write2_b32 v5, v14, v16 offset0:4 offset1:5
	;; [unrolled: 1-line block ×7, first 2 shown]
	ds_write_b32 v5, v6 offset:64
.LBB0_14:
	s_or_b64 exec, exec, s[2:3]
	v_add_u32_e32 v20, 0x44, v0
	s_movk_i32 s0, 0xf1
	v_mul_lo_u16_sdwa v4, v20, s0 dst_sel:DWORD dst_unused:UNUSED_PAD src0_sel:BYTE_0 src1_sel:DWORD
	v_lshrrev_b16_e32 v37, 12, v4
	v_mul_lo_u16_e32 v4, 17, v37
	v_add_u32_e32 v22, 0x88, v0
	v_mov_b32_e32 v27, 3
	v_sub_u16_e32 v69, v20, v4
	v_mul_lo_u16_sdwa v8, v22, s0 dst_sel:DWORD dst_unused:UNUSED_PAD src0_sel:BYTE_0 src1_sel:DWORD
	v_mul_u32_u24_sdwa v4, v69, v27 dst_sel:DWORD dst_unused:UNUSED_PAD src0_sel:BYTE_0 src1_sel:DWORD
	v_lshrrev_b16_e32 v70, 12, v8
	v_lshlrev_b32_e32 v16, 3, v4
	v_mul_lo_u16_sdwa v12, v0, s0 dst_sel:DWORD dst_unused:UNUSED_PAD src0_sel:BYTE_0 src1_sel:DWORD
	v_mul_lo_u16_e32 v8, 17, v70
	s_waitcnt lgkmcnt(0)
	s_barrier
	global_load_dwordx4 v[4:7], v16, s[8:9]
	global_load_dwordx2 v[25:26], v16, s[8:9] offset:16
	v_sub_u16_e32 v71, v22, v8
	v_lshrrev_b16_e32 v72, 12, v12
	v_mul_u32_u24_sdwa v8, v71, v27 dst_sel:DWORD dst_unused:UNUSED_PAD src0_sel:BYTE_0 src1_sel:DWORD
	v_mul_lo_u16_e32 v12, 17, v72
	v_add_u32_e32 v21, 0xcc, v0
	s_mov_b32 s0, 0xf0f1
	v_lshlrev_b32_e32 v17, 3, v8
	v_sub_u16_e32 v73, v0, v12
	v_mul_u32_u24_sdwa v74, v21, s0 dst_sel:DWORD dst_unused:UNUSED_PAD src0_sel:WORD_0 src1_sel:DWORD
	global_load_dwordx4 v[8:11], v17, s[8:9]
	global_load_dwordx2 v[29:30], v17, s[8:9] offset:16
	v_mul_u32_u24_sdwa v12, v73, v27 dst_sel:DWORD dst_unused:UNUSED_PAD src0_sel:BYTE_0 src1_sel:DWORD
	v_lshrrev_b32_e32 v75, 20, v74
	v_lshlrev_b32_e32 v18, 3, v12
	v_mul_lo_u16_e32 v16, 17, v75
	global_load_dwordx4 v[12:15], v18, s[8:9]
	global_load_dwordx2 v[23:24], v18, s[8:9] offset:16
	v_sub_u16_e32 v76, v21, v16
	v_mul_u32_u24_e32 v16, 3, v76
	v_lshlrev_b32_e32 v33, 3, v16
	global_load_dwordx4 v[16:19], v33, s[8:9]
	global_load_dwordx2 v[31:32], v33, s[8:9] offset:16
	ds_read2_b32 v[33:34], v56 offset0:76 offset1:144
	ds_read2_b32 v[35:36], v54 offset0:84 offset1:152
	;; [unrolled: 1-line block ×6, first 2 shown]
	s_movk_i32 s0, 0x110
	s_waitcnt vmcnt(7) lgkmcnt(4)
	v_mul_f32_e32 v77, v35, v5
	v_mul_f32_e32 v5, v50, v5
	v_fmac_f32_e32 v77, v50, v4
	v_fma_f32 v35, v35, v4, -v5
	ds_read2_b32 v[4:5], v55 offset0:116 offset1:184
	s_waitcnt lgkmcnt(3)
	v_mul_f32_e32 v78, v63, v7
	v_mul_f32_e32 v7, v48, v7
	v_fmac_f32_e32 v78, v48, v6
	v_fma_f32 v6, v63, v6, -v7
	ds_read_b32 v48, v52
	ds_read_b32 v50, v28 offset:4080
	s_waitcnt lgkmcnt(3)
	v_sub_f32_e32 v6, v67, v6
	s_waitcnt vmcnt(5)
	v_mul_f32_e32 v7, v36, v9
	v_mul_f32_e32 v9, v51, v9
	v_fmac_f32_e32 v7, v51, v8
	v_fma_f32 v8, v36, v8, -v9
	v_mul_f32_e32 v36, v64, v11
	v_mul_f32_e32 v11, v49, v11
	s_waitcnt vmcnt(3)
	v_mul_f32_e32 v9, v34, v13
	v_fmac_f32_e32 v36, v49, v10
	v_mul_f32_e32 v13, v39, v13
	v_fma_f32 v10, v64, v10, -v11
	v_mul_f32_e32 v11, v62, v15
	v_mul_f32_e32 v15, v45, v15
	s_waitcnt vmcnt(2)
	v_mul_f32_e32 v49, v66, v24
	v_mul_f32_e32 v24, v43, v24
	s_waitcnt lgkmcnt(2)
	v_mul_f32_e32 v51, v4, v26
	v_mul_f32_e32 v26, v46, v26
	v_fmac_f32_e32 v9, v39, v12
	v_fma_f32 v12, v34, v12, -v13
	v_fma_f32 v13, v62, v14, -v15
	v_fmac_f32_e32 v49, v43, v23
	v_fma_f32 v23, v66, v23, -v24
	v_fmac_f32_e32 v11, v45, v14
	v_mul_f32_e32 v14, v5, v30
	v_mul_f32_e32 v15, v47, v30
	s_waitcnt vmcnt(1)
	v_mul_f32_e32 v30, v61, v17
	v_mul_f32_e32 v17, v44, v17
	v_fma_f32 v4, v4, v25, -v26
	s_waitcnt lgkmcnt(1)
	v_sub_f32_e32 v13, v48, v13
	v_sub_f32_e32 v23, v12, v23
	v_fmac_f32_e32 v51, v46, v25
	v_fma_f32 v5, v5, v29, -v15
	v_fmac_f32_e32 v30, v44, v16
	v_fma_f32 v15, v61, v16, -v17
	v_mul_f32_e32 v16, v65, v19
	v_mul_f32_e32 v17, v42, v19
	v_fma_f32 v25, v48, 2.0, -v13
	v_fma_f32 v12, v12, 2.0, -v23
	v_sub_f32_e32 v4, v35, v4
	v_fmac_f32_e32 v14, v47, v29
	v_fmac_f32_e32 v16, v42, v18
	v_fma_f32 v17, v65, v18, -v17
	s_waitcnt vmcnt(0) lgkmcnt(0)
	v_mul_f32_e32 v18, v50, v32
	v_sub_f32_e32 v12, v25, v12
	v_fma_f32 v29, v67, 2.0, -v6
	v_fma_f32 v34, v35, 2.0, -v4
	v_fmac_f32_e32 v18, v60, v31
	v_mul_f32_e32 v19, v60, v32
	v_sub_f32_e32 v26, v9, v49
	v_fma_f32 v39, v25, 2.0, -v12
	v_sub_f32_e32 v25, v40, v78
	v_sub_f32_e32 v35, v29, v34
	v_fma_f32 v19, v50, v31, -v19
	v_sub_f32_e32 v11, v59, v11
	v_fma_f32 v9, v9, 2.0, -v26
	v_sub_f32_e32 v42, v13, v26
	v_fma_f32 v26, v40, 2.0, -v25
	;; [unrolled: 2-line block ×3, first 2 shown]
	v_sub_f32_e32 v29, v41, v36
	v_sub_f32_e32 v17, v33, v17
	;; [unrolled: 1-line block ×3, first 2 shown]
	v_fma_f32 v24, v59, 2.0, -v11
	v_fma_f32 v32, v77, 2.0, -v31
	v_sub_f32_e32 v43, v6, v31
	v_fma_f32 v31, v41, 2.0, -v29
	v_sub_f32_e32 v41, v17, v18
	v_mov_b32_e32 v51, 2
	v_sub_f32_e32 v9, v24, v9
	v_add_f32_e32 v23, v11, v23
	v_fma_f32 v33, v33, 2.0, -v17
	v_fma_f32 v30, v30, 2.0, -v18
	;; [unrolled: 1-line block ×3, first 2 shown]
	v_mad_u32_u24 v17, v72, s0, 0
	v_lshlrev_b32_sdwa v18, v51, v73 dst_sel:DWORD dst_unused:UNUSED_PAD src0_sel:DWORD src1_sel:BYTE_0
	v_fma_f32 v24, v24, 2.0, -v9
	v_fma_f32 v11, v11, 2.0, -v23
	v_add3_u32 v45, v17, v18, v1
	v_sub_f32_e32 v32, v26, v32
	v_add_f32_e32 v4, v25, v4
	v_sub_f32_e32 v10, v68, v10
	v_sub_f32_e32 v14, v7, v14
	;; [unrolled: 1-line block ×3, first 2 shown]
	s_barrier
	ds_write2_b32 v45, v24, v11 offset1:17
	ds_write2_b32 v45, v9, v23 offset0:34 offset1:51
	v_mad_u32_u24 v9, v37, s0, 0
	v_lshlrev_b32_sdwa v11, v51, v69 dst_sel:DWORD dst_unused:UNUSED_PAD src0_sel:DWORD src1_sel:BYTE_0
	v_fma_f32 v26, v26, 2.0, -v32
	v_fma_f32 v25, v25, 2.0, -v4
	;; [unrolled: 1-line block ×5, first 2 shown]
	v_add3_u32 v9, v9, v11, v1
	v_sub_f32_e32 v7, v31, v7
	v_sub_f32_e32 v8, v34, v8
	v_add_f32_e32 v5, v29, v5
	v_sub_f32_e32 v16, v38, v16
	ds_write2_b32 v9, v26, v25 offset1:17
	ds_write2_b32 v9, v32, v4 offset0:34 offset1:51
	v_mad_u32_u24 v4, v70, s0, 0
	v_lshlrev_b32_sdwa v11, v51, v71 dst_sel:DWORD dst_unused:UNUSED_PAD src0_sel:DWORD src1_sel:BYTE_0
	v_fma_f32 v31, v31, 2.0, -v7
	v_fma_f32 v36, v34, 2.0, -v8
	v_fma_f32 v29, v29, 2.0, -v5
	v_fma_f32 v34, v38, 2.0, -v16
	v_sub_f32_e32 v19, v15, v19
	v_add3_u32 v4, v4, v11, v1
	v_fma_f32 v15, v15, 2.0, -v19
	v_sub_f32_e32 v30, v34, v30
	v_add_f32_e32 v19, v16, v19
	ds_write2_b32 v4, v31, v29 offset1:17
	ds_write2_b32 v4, v7, v5 offset0:34 offset1:51
	v_mad_u32_u24 v5, v75, s0, 0
	v_lshlrev_b32_e32 v7, 2, v76
	v_fma_f32 v13, v13, 2.0, -v42
	v_sub_f32_e32 v14, v10, v14
	v_sub_f32_e32 v15, v33, v15
	v_fma_f32 v34, v34, 2.0, -v30
	v_fma_f32 v16, v16, 2.0, -v19
	v_add3_u32 v5, v5, v7, v1
	v_fma_f32 v6, v6, 2.0, -v43
	v_fma_f32 v10, v10, 2.0, -v14
	;; [unrolled: 1-line block ×3, first 2 shown]
	ds_write2_b32 v5, v34, v16 offset1:17
	ds_write2_b32 v5, v30, v19 offset0:34 offset1:51
	s_waitcnt lgkmcnt(0)
	s_barrier
	ds_read2_b32 v[16:17], v56 offset0:76 offset1:144
	ds_read2_b32 v[18:19], v58 offset0:92 offset1:160
	;; [unrolled: 1-line block ×7, first 2 shown]
	ds_read_b32 v63, v52
	ds_read_b32 v64, v28 offset:4080
	s_waitcnt lgkmcnt(0)
	s_barrier
	ds_write2_b32 v45, v39, v13 offset1:17
	ds_write2_b32 v45, v12, v42 offset0:34 offset1:51
	ds_write2_b32 v9, v40, v6 offset1:17
	ds_write2_b32 v9, v35, v43 offset0:34 offset1:51
	;; [unrolled: 2-line block ×4, first 2 shown]
	v_mul_u32_u24_e32 v4, 3, v0
	v_lshlrev_b32_e32 v8, 3, v4
	s_movk_i32 s0, 0x79
	s_waitcnt lgkmcnt(0)
	s_barrier
	global_load_dwordx4 v[4:7], v8, s[8:9] offset:408
	global_load_dwordx2 v[35:36], v8, s[8:9] offset:424
	v_mul_lo_u16_sdwa v8, v22, s0 dst_sel:DWORD dst_unused:UNUSED_PAD src0_sel:BYTE_0 src1_sel:DWORD
	v_lshrrev_b16_e32 v8, 13, v8
	v_mul_lo_u16_e32 v8, 0x44, v8
	v_sub_u16_e32 v65, v22, v8
	v_mul_u32_u24_sdwa v8, v65, v27 dst_sel:DWORD dst_unused:UNUSED_PAD src0_sel:BYTE_0 src1_sel:DWORD
	v_lshlrev_b32_e32 v12, 3, v8
	global_load_dwordx4 v[8:11], v12, s[8:9] offset:408
	global_load_dwordx2 v[37:38], v12, s[8:9] offset:424
	v_lshrrev_b32_e32 v12, 22, v74
	v_mul_lo_u16_e32 v12, 0x44, v12
	v_sub_u16_e32 v27, v21, v12
	v_mul_u32_u24_e32 v12, 3, v27
	v_lshlrev_b32_e32 v41, 3, v12
	global_load_dwordx4 v[12:15], v41, s[8:9] offset:408
	global_load_dwordx2 v[39:40], v41, s[8:9] offset:424
	ds_read2_b32 v[41:42], v56 offset0:76 offset1:144
	ds_read2_b32 v[43:44], v58 offset0:92 offset1:160
	ds_read2_b32 v[45:46], v57 offset0:108 offset1:176
	ds_read2_b32 v[47:48], v28 offset0:68 offset1:136
	ds_read2_b32 v[49:50], v54 offset0:84 offset1:152
	ds_read2_b32 v[59:60], v53 offset0:100 offset1:168
	ds_read2_b32 v[61:62], v55 offset0:116 offset1:184
	ds_read_b32 v66, v52
	ds_read_b32 v67, v28 offset:4080
	s_waitcnt vmcnt(0) lgkmcnt(0)
	s_barrier
	v_mul_f32_e32 v68, v42, v5
	v_fmac_f32_e32 v68, v17, v4
	v_mul_f32_e32 v17, v17, v5
	v_fma_f32 v17, v42, v4, -v17
	v_mul_f32_e32 v42, v44, v7
	v_fmac_f32_e32 v42, v19, v6
	v_mul_f32_e32 v19, v19, v7
	v_fma_f32 v19, v44, v6, -v19
	;; [unrolled: 4-line block ×3, first 2 shown]
	v_mul_f32_e32 v46, v49, v5
	v_mul_f32_e32 v5, v29, v5
	v_fmac_f32_e32 v46, v29, v4
	v_fma_f32 v4, v49, v4, -v5
	v_mul_f32_e32 v5, v59, v7
	v_fmac_f32_e32 v5, v31, v6
	v_mul_f32_e32 v7, v31, v7
	v_mul_f32_e32 v31, v50, v9
	;; [unrolled: 1-line block ×3, first 2 shown]
	v_fmac_f32_e32 v31, v30, v8
	v_fma_f32 v8, v50, v8, -v9
	v_mul_f32_e32 v9, v60, v11
	v_fmac_f32_e32 v9, v32, v10
	v_mul_f32_e32 v11, v32, v11
	v_mul_f32_e32 v32, v43, v13
	;; [unrolled: 1-line block ×3, first 2 shown]
	v_fma_f32 v6, v59, v6, -v7
	v_mul_f32_e32 v7, v61, v36
	v_mul_f32_e32 v29, v33, v36
	v_fmac_f32_e32 v32, v18, v12
	v_fma_f32 v12, v43, v12, -v13
	v_mul_f32_e32 v13, v45, v15
	v_fmac_f32_e32 v7, v33, v35
	v_fma_f32 v29, v61, v35, -v29
	v_fma_f32 v10, v60, v10, -v11
	v_mul_f32_e32 v11, v62, v38
	v_fmac_f32_e32 v13, v23, v14
	v_mul_f32_e32 v15, v23, v15
	v_sub_f32_e32 v23, v63, v42
	v_sub_f32_e32 v19, v66, v19
	;; [unrolled: 1-line block ×4, first 2 shown]
	v_fmac_f32_e32 v11, v34, v37
	v_mul_f32_e32 v30, v34, v38
	v_fma_f32 v33, v63, 2.0, -v23
	v_fma_f32 v34, v66, 2.0, -v19
	;; [unrolled: 1-line block ×4, first 2 shown]
	v_fma_f32 v30, v62, v37, -v30
	v_fma_f32 v14, v45, v14, -v15
	v_mul_f32_e32 v15, v67, v40
	v_mul_f32_e32 v18, v64, v40
	v_sub_f32_e32 v36, v33, v36
	v_sub_f32_e32 v37, v34, v17
	;; [unrolled: 1-line block ×4, first 2 shown]
	v_fmac_f32_e32 v15, v64, v39
	v_fma_f32 v18, v67, v39, -v18
	v_fma_f32 v17, v33, 2.0, -v36
	v_fma_f32 v33, v34, 2.0, -v37
	v_sub_f32_e32 v34, v19, v35
	v_sub_f32_e32 v5, v25, v5
	;; [unrolled: 1-line block ×4, first 2 shown]
	v_add_f32_e32 v24, v23, v24
	v_fma_f32 v35, v19, 2.0, -v34
	v_fma_f32 v19, v25, 2.0, -v5
	v_fma_f32 v25, v47, 2.0, -v6
	v_fma_f32 v38, v46, 2.0, -v7
	v_fma_f32 v4, v4, 2.0, -v29
	v_add_f32_e32 v29, v5, v29
	v_fma_f32 v40, v6, 2.0, -v39
	v_sub_f32_e32 v6, v26, v9
	v_sub_f32_e32 v11, v31, v11
	v_fma_f32 v23, v23, 2.0, -v24
	v_sub_f32_e32 v38, v19, v38
	v_fma_f32 v5, v5, 2.0, -v29
	;; [unrolled: 2-line block ×4, first 2 shown]
	v_fma_f32 v19, v19, 2.0, -v38
	v_fma_f32 v10, v48, 2.0, -v7
	;; [unrolled: 1-line block ×3, first 2 shown]
	v_sub_f32_e32 v30, v9, v30
	ds_write2_b32 v28, v17, v23 offset1:68
	ds_write2_b32 v28, v36, v24 offset0:136 offset1:204
	ds_write2_b32 v54, v19, v5 offset0:16 offset1:84
	;; [unrolled: 1-line block ×3, first 2 shown]
	v_lshlrev_b32_sdwa v5, v51, v65 dst_sel:DWORD dst_unused:UNUSED_PAD src0_sel:DWORD src1_sel:BYTE_0
	v_sub_f32_e32 v31, v10, v8
	v_fma_f32 v8, v9, 2.0, -v30
	v_add_f32_e32 v9, v6, v26
	v_sub_f32_e32 v26, v7, v11
	v_add3_u32 v5, 0, v5, v1
	v_fma_f32 v42, v10, 2.0, -v31
	v_fma_f32 v6, v6, 2.0, -v9
	;; [unrolled: 1-line block ×3, first 2 shown]
	v_sub_f32_e32 v7, v16, v13
	v_sub_f32_e32 v10, v41, v14
	;; [unrolled: 1-line block ×4, first 2 shown]
	v_add_u32_e32 v5, 0x800, v5
	v_fma_f32 v11, v16, 2.0, -v7
	v_fma_f32 v13, v41, 2.0, -v10
	;; [unrolled: 1-line block ×4, first 2 shown]
	ds_write2_b32 v5, v8, v6 offset0:32 offset1:100
	ds_write2_b32 v5, v30, v9 offset0:168 offset1:236
	v_lshlrev_b32_e32 v6, 2, v27
	v_sub_f32_e32 v16, v11, v16
	v_sub_f32_e32 v32, v13, v12
	v_add_f32_e32 v12, v7, v15
	v_add3_u32 v1, 0, v6, v1
	v_sub_f32_e32 v4, v25, v4
	v_fma_f32 v11, v11, 2.0, -v16
	v_sub_f32_e32 v44, v10, v14
	v_fma_f32 v7, v7, 2.0, -v12
	v_add_u32_e32 v1, 0xc00, v1
	v_fma_f32 v25, v25, 2.0, -v4
	v_fma_f32 v41, v13, 2.0, -v32
	;; [unrolled: 1-line block ×3, first 2 shown]
	ds_write2_b32 v1, v11, v7 offset0:48 offset1:116
	ds_write2_b32 v1, v16, v12 offset0:184 offset1:252
	s_waitcnt lgkmcnt(0)
	s_barrier
	ds_read2_b32 v[6:7], v58 offset0:92 offset1:160
	ds_read2_b32 v[8:9], v28 offset0:68 offset1:136
	;; [unrolled: 1-line block ×7, first 2 shown]
	ds_read_b32 v27, v52
	ds_read_b32 v47, v28 offset:4080
	s_waitcnt lgkmcnt(0)
	s_barrier
	ds_write2_b32 v28, v33, v35 offset1:68
	ds_write2_b32 v28, v37, v34 offset0:136 offset1:204
	ds_write2_b32 v54, v25, v40 offset0:16 offset1:84
	;; [unrolled: 1-line block ×7, first 2 shown]
	v_mov_b32_e32 v1, 0
	v_lshlrev_b64 v[4:5], 3, v[0:1]
	v_mov_b32_e32 v1, s9
	v_add_co_u32_e64 v4, s[0:1], s8, v4
	v_addc_co_u32_e64 v5, s[0:1], v1, v5, s[0:1]
	s_waitcnt lgkmcnt(0)
	s_barrier
	global_load_dwordx2 v[23:24], v[4:5], off offset:2040
	global_load_dwordx2 v[25:26], v[4:5], off offset:2584
	;; [unrolled: 1-line block ×4, first 2 shown]
	ds_read2_b32 v[33:34], v58 offset0:92 offset1:160
	ds_read2_b32 v[35:36], v28 offset0:68 offset1:136
	;; [unrolled: 1-line block ×7, first 2 shown]
	ds_read_b32 v1, v52
	ds_read_b32 v48, v28 offset:4080
	s_waitcnt vmcnt(0) lgkmcnt(0)
	s_barrier
	v_mul_f32_e32 v49, v34, v24
	v_fmac_f32_e32 v49, v7, v23
	v_mul_f32_e32 v7, v7, v24
	v_fma_f32 v7, v34, v23, -v7
	v_mul_f32_e32 v34, v37, v26
	v_fmac_f32_e32 v34, v10, v25
	v_mul_f32_e32 v10, v10, v26
	v_fma_f32 v10, v37, v25, -v10
	;; [unrolled: 4-line block ×5, first 2 shown]
	v_mul_f32_e32 v23, v45, v26
	v_mul_f32_e32 v24, v46, v30
	v_fmac_f32_e32 v23, v18, v25
	v_mul_f32_e32 v18, v18, v26
	v_fmac_f32_e32 v24, v19, v29
	v_mul_f32_e32 v19, v19, v30
	v_fma_f32 v18, v45, v25, -v18
	v_fma_f32 v19, v46, v29, -v19
	v_mul_f32_e32 v25, v48, v32
	v_mul_f32_e32 v26, v47, v32
	v_sub_f32_e32 v29, v27, v49
	v_sub_f32_e32 v30, v1, v7
	v_fmac_f32_e32 v25, v47, v31
	v_fma_f32 v26, v48, v31, -v26
	v_fma_f32 v7, v27, 2.0, -v29
	v_fma_f32 v27, v1, 2.0, -v30
	v_sub_f32_e32 v1, v8, v34
	v_sub_f32_e32 v31, v35, v10
	;; [unrolled: 1-line block ×3, first 2 shown]
	v_fma_f32 v32, v35, 2.0, -v31
	v_fma_f32 v35, v36, 2.0, -v34
	v_sub_f32_e32 v11, v12, v38
	v_sub_f32_e32 v36, v39, v14
	;; [unrolled: 1-line block ×4, first 2 shown]
	v_fma_f32 v37, v39, 2.0, -v36
	v_sub_f32_e32 v14, v13, v41
	v_fma_f32 v39, v40, 2.0, -v38
	v_sub_f32_e32 v15, v16, v23
	v_sub_f32_e32 v40, v43, v18
	;; [unrolled: 1-line block ×5, first 2 shown]
	v_fma_f32 v8, v8, 2.0, -v1
	v_fma_f32 v9, v9, 2.0, -v10
	;; [unrolled: 1-line block ×7, first 2 shown]
	ds_write2_b32 v28, v7, v8 offset1:68
	ds_write2_b32 v54, v29, v1 offset0:16 offset1:84
	ds_write2_b32 v28, v9, v12 offset0:136 offset1:204
	;; [unrolled: 1-line block ×7, first 2 shown]
	s_waitcnt lgkmcnt(0)
	s_barrier
	ds_read2_b32 v[6:7], v58 offset0:92 offset1:160
	ds_read2_b32 v[8:9], v28 offset0:68 offset1:136
	ds_read2_b32 v[10:11], v53 offset0:100 offset1:168
	ds_read2_b32 v[12:13], v56 offset0:76 offset1:144
	ds_read2_b32 v[14:15], v57 offset0:108 offset1:176
	ds_read2_b32 v[16:17], v54 offset0:84 offset1:152
	ds_read2_b32 v[18:19], v55 offset0:116 offset1:184
	ds_read_b32 v1, v52
	ds_read_b32 v23, v28 offset:4080
	v_sub_f32_e32 v25, v33, v26
	v_fma_f32 v41, v43, 2.0, -v40
	v_fma_f32 v42, v44, 2.0, -v24
	;; [unrolled: 1-line block ×3, first 2 shown]
	s_waitcnt lgkmcnt(0)
	s_barrier
	ds_write2_b32 v28, v27, v32 offset1:68
	ds_write2_b32 v54, v30, v31 offset0:16 offset1:84
	ds_write2_b32 v28, v35, v37 offset0:136 offset1:204
	;; [unrolled: 1-line block ×7, first 2 shown]
	s_waitcnt lgkmcnt(0)
	s_barrier
	s_and_saveexec_b64 s[0:1], vcc
	s_cbranch_execz .LBB0_16
; %bb.15:
	v_add_co_u32_e32 v39, vcc, 0x220, v4
	s_mov_b64 s[0:1], vcc
	v_add_co_u32_e32 v37, vcc, 0x440, v4
	s_mov_b64 s[2:3], vcc
	v_add_co_u32_e32 v35, vcc, 0x660, v4
	v_addc_co_u32_e32 v36, vcc, 0, v5, vcc
	v_add_co_u32_e32 v24, vcc, 0x1000, v4
	s_movk_i32 s4, 0x1000
	v_addc_co_u32_e32 v25, vcc, 0, v5, vcc
	v_add_co_u32_e32 v35, vcc, s4, v35
	v_addc_co_u32_e32 v36, vcc, 0, v36, vcc
	global_load_dwordx2 v[26:27], v[24:25], off offset:3928
	global_load_dwordx2 v[29:30], v[24:25], off offset:3384
	;; [unrolled: 1-line block ×4, first 2 shown]
	v_addc_co_u32_e64 v4, vcc, 0, v5, s[2:3]
	global_load_dwordx2 v[35:36], v[35:36], off offset:120
	v_add_co_u32_e32 v37, vcc, s4, v37
	v_addc_co_u32_e32 v38, vcc, 0, v4, vcc
	global_load_dwordx2 v[37:38], v[37:38], off offset:120
	v_addc_co_u32_e64 v5, vcc, 0, v5, s[0:1]
	v_add_co_u32_e32 v4, vcc, s4, v39
	v_addc_co_u32_e32 v5, vcc, 0, v5, vcc
	global_load_dwordx2 v[39:40], v[4:5], off offset:120
	global_load_dwordx2 v[41:42], v[24:25], off offset:120
	v_add_u32_e32 v4, 0x600, v28
	v_add_u32_e32 v24, 0x400, v28
	v_add_u32_e32 v43, 0xc00, v28
	v_add_u32_e32 v45, 0x200, v28
	v_add_u32_e32 v47, 0xa00, v28
	ds_read_b32 v49, v28 offset:4080
	ds_read_b32 v50, v52
	ds_read2_b32 v[4:5], v4 offset0:92 offset1:160
	ds_read2_b32 v[24:25], v24 offset0:84 offset1:152
	;; [unrolled: 1-line block ×5, first 2 shown]
	s_mov_b32 s1, 0xf0f0f0f1
	s_movk_i32 s0, 0x220
	s_waitcnt vmcnt(7)
	v_mul_f32_e32 v51, v23, v27
	s_waitcnt lgkmcnt(6)
	v_mul_f32_e32 v27, v49, v27
	s_waitcnt vmcnt(6)
	v_mul_f32_e32 v52, v19, v30
	s_waitcnt lgkmcnt(2)
	v_mul_f32_e32 v30, v44, v30
	s_waitcnt vmcnt(5)
	v_mul_f32_e32 v53, v18, v32
	v_mul_f32_e32 v32, v43, v32
	s_waitcnt vmcnt(4)
	v_mul_f32_e32 v54, v15, v34
	s_waitcnt lgkmcnt(0)
	v_mul_f32_e32 v34, v48, v34
	s_waitcnt vmcnt(3)
	v_mul_f32_e32 v55, v14, v36
	v_fma_f32 v49, v26, v49, -v51
	v_fmac_f32_e32 v27, v23, v26
	v_fma_f32 v23, v29, v44, -v52
	v_fmac_f32_e32 v30, v19, v29
	;; [unrolled: 2-line block ×4, first 2 shown]
	v_fma_f32 v15, v47, v35, -v55
	v_sub_f32_e32 v19, v4, v49
	v_sub_f32_e32 v18, v6, v27
	;; [unrolled: 1-line block ×8, first 2 shown]
	v_fma_f32 v34, v4, 2.0, -v19
	v_fma_f32 v33, v6, 2.0, -v18
	v_mul_f32_e32 v4, v47, v36
	v_add_u32_e32 v6, 0x800, v28
	v_sub_f32_e32 v27, v25, v23
	v_fma_f32 v43, v17, 2.0, -v26
	v_fma_f32 v17, v24, 2.0, -v30
	;; [unrolled: 1-line block ×5, first 2 shown]
	v_fmac_f32_e32 v4, v14, v35
	ds_read2_b32 v[35:36], v6 offset0:100 offset1:168
	ds_read2_b32 v[45:46], v28 offset0:68 offset1:136
	v_sub_f32_e32 v14, v12, v4
	s_waitcnt vmcnt(2)
	v_mul_f32_e32 v4, v11, v38
	v_fma_f32 v44, v25, 2.0, -v27
	s_waitcnt lgkmcnt(1)
	v_fma_f32 v4, v36, v37, -v4
	s_waitcnt lgkmcnt(0)
	v_sub_f32_e32 v47, v46, v4
	v_mul_f32_e32 v4, v36, v38
	v_fmac_f32_e32 v4, v11, v37
	v_fma_f32 v49, v46, 2.0, -v47
	v_sub_f32_e32 v46, v9, v4
	s_waitcnt vmcnt(1)
	v_mul_f32_e32 v4, v10, v40
	v_fma_f32 v4, v35, v39, -v4
	v_sub_f32_e32 v11, v45, v4
	v_mul_f32_e32 v4, v35, v40
	v_mad_u64_u32 v[35:36], s[2:3], s12, v0, 0
	v_fmac_f32_e32 v4, v10, v39
	v_sub_f32_e32 v10, v8, v4
	s_waitcnt vmcnt(0)
	v_mul_f32_e32 v4, v7, v42
	v_fma_f32 v4, v5, v41, -v4
	v_sub_f32_e32 v6, v50, v4
	v_mov_b32_e32 v4, v36
	v_mul_f32_e32 v25, v5, v42
	v_mad_u64_u32 v[4:5], s[2:3], s13, v0, v[4:5]
	v_fmac_f32_e32 v25, v7, v41
	v_sub_f32_e32 v5, v1, v25
	v_fma_f32 v37, v1, 2.0, -v5
	v_mov_b32_e32 v1, s15
	v_add_co_u32_e32 v7, vcc, s14, v2
	v_add_u32_e32 v28, 0x220, v0
	v_mov_b32_e32 v36, v4
	v_addc_co_u32_e32 v25, vcc, v1, v3, vcc
	v_mad_u64_u32 v[3:4], s[2:3], s12, v28, 0
	v_lshlrev_b64 v[1:2], 3, v[35:36]
	v_mad_u64_u32 v[39:40], s[2:3], s12, v20, 0
	v_mad_u64_u32 v[35:36], s[2:3], s13, v28, v[4:5]
	v_add_co_u32_e32 v1, vcc, v7, v1
	v_fma_f32 v38, v50, 2.0, -v6
	v_addc_co_u32_e32 v2, vcc, v25, v2, vcc
	v_mov_b32_e32 v4, v35
	global_store_dwordx2 v[1:2], v[37:38], off
	v_lshlrev_b64 v[1:2], 3, v[3:4]
	v_mov_b32_e32 v3, v40
	v_mad_u64_u32 v[3:4], s[2:3], s13, v20, v[3:4]
	v_add_co_u32_e32 v1, vcc, v7, v1
	v_addc_co_u32_e32 v2, vcc, v25, v2, vcc
	global_store_dwordx2 v[1:2], v[5:6], off
	v_add_u32_e32 v5, 0x264, v0
	v_mov_b32_e32 v40, v3
	v_mad_u64_u32 v[3:4], s[2:3], s12, v5, 0
	v_lshlrev_b64 v[1:2], 3, v[39:40]
	v_fma_f32 v48, v9, 2.0, -v46
	v_mad_u64_u32 v[4:5], s[2:3], s13, v5, v[4:5]
	v_mad_u64_u32 v[5:6], s[2:3], s12, v22, 0
	v_add_co_u32_e32 v1, vcc, v7, v1
	v_fma_f32 v9, v45, 2.0, -v11
	v_fma_f32 v8, v8, 2.0, -v10
	v_addc_co_u32_e32 v2, vcc, v25, v2, vcc
	global_store_dwordx2 v[1:2], v[8:9], off
	v_lshlrev_b64 v[1:2], 3, v[3:4]
	v_mov_b32_e32 v3, v6
	v_mad_u64_u32 v[3:4], s[2:3], s13, v22, v[3:4]
	v_add_co_u32_e32 v1, vcc, v7, v1
	v_addc_co_u32_e32 v2, vcc, v25, v2, vcc
	v_mov_b32_e32 v6, v3
	global_store_dwordx2 v[1:2], v[10:11], off
	v_lshlrev_b64 v[1:2], 3, v[5:6]
	v_add_u32_e32 v5, 0x2a8, v0
	v_mad_u64_u32 v[3:4], s[2:3], s12, v5, 0
	v_add_co_u32_e32 v1, vcc, v7, v1
	v_mad_u64_u32 v[4:5], s[2:3], s13, v5, v[4:5]
	v_mad_u64_u32 v[5:6], s[2:3], s12, v21, 0
	v_addc_co_u32_e32 v2, vcc, v25, v2, vcc
	global_store_dwordx2 v[1:2], v[48:49], off
	v_lshlrev_b64 v[1:2], 3, v[3:4]
	v_mov_b32_e32 v3, v6
	v_mad_u64_u32 v[3:4], s[2:3], s13, v21, v[3:4]
	v_add_co_u32_e32 v1, vcc, v7, v1
	v_addc_co_u32_e32 v2, vcc, v25, v2, vcc
	v_mov_b32_e32 v6, v3
	global_store_dwordx2 v[1:2], v[46:47], off
	v_lshlrev_b64 v[1:2], 3, v[5:6]
	v_add_u32_e32 v5, 0x2ec, v0
	v_mad_u64_u32 v[3:4], s[2:3], s12, v5, 0
	v_add_u32_e32 v8, 0x110, v0
	v_add_co_u32_e32 v1, vcc, v7, v1
	v_mad_u64_u32 v[4:5], s[2:3], s13, v5, v[4:5]
	v_mad_u64_u32 v[5:6], s[2:3], s12, v8, 0
	v_fma_f32 v12, v12, 2.0, -v14
	v_addc_co_u32_e32 v2, vcc, v25, v2, vcc
	global_store_dwordx2 v[1:2], v[12:13], off
	v_lshlrev_b64 v[1:2], 3, v[3:4]
	v_mov_b32_e32 v3, v6
	v_mad_u64_u32 v[3:4], s[2:3], s13, v8, v[3:4]
	v_add_co_u32_e32 v1, vcc, v7, v1
	v_addc_co_u32_e32 v2, vcc, v25, v2, vcc
	v_mov_b32_e32 v6, v3
	global_store_dwordx2 v[1:2], v[14:15], off
	v_lshlrev_b64 v[1:2], 3, v[5:6]
	v_add_u32_e32 v5, 0x330, v0
	v_mad_u64_u32 v[3:4], s[2:3], s12, v5, 0
	v_add_u32_e32 v8, 0x154, v0
	v_add_co_u32_e32 v1, vcc, v7, v1
	v_mad_u64_u32 v[4:5], s[2:3], s13, v5, v[4:5]
	v_mad_u64_u32 v[5:6], s[2:3], s12, v8, 0
	v_addc_co_u32_e32 v2, vcc, v25, v2, vcc
	global_store_dwordx2 v[1:2], v[23:24], off
	v_lshlrev_b64 v[1:2], 3, v[3:4]
	v_mov_b32_e32 v3, v6
	v_mad_u64_u32 v[3:4], s[2:3], s13, v8, v[3:4]
	v_add_co_u32_e32 v1, vcc, v7, v1
	v_addc_co_u32_e32 v2, vcc, v25, v2, vcc
	v_mov_b32_e32 v6, v3
	global_store_dwordx2 v[1:2], v[31:32], off
	v_lshlrev_b64 v[1:2], 3, v[5:6]
	v_add_u32_e32 v5, 0x374, v0
	v_mad_u64_u32 v[3:4], s[2:3], s12, v5, 0
	v_add_u32_e32 v6, 0x198, v0
	v_mul_hi_u32 v8, v6, s1
	v_mad_u64_u32 v[4:5], s[2:3], s13, v5, v[4:5]
	v_add_co_u32_e32 v1, vcc, v7, v1
	v_lshrrev_b32_e32 v5, 9, v8
	v_mad_u32_u24 v8, v5, s0, v6
	v_mad_u64_u32 v[5:6], s[2:3], s12, v8, 0
	v_fma_f32 v16, v16, 2.0, -v29
	v_addc_co_u32_e32 v2, vcc, v25, v2, vcc
	global_store_dwordx2 v[1:2], v[16:17], off
	v_lshlrev_b64 v[1:2], 3, v[3:4]
	v_mov_b32_e32 v3, v6
	v_mad_u64_u32 v[3:4], s[2:3], s13, v8, v[3:4]
	v_add_co_u32_e32 v1, vcc, v7, v1
	v_addc_co_u32_e32 v2, vcc, v25, v2, vcc
	v_mov_b32_e32 v6, v3
	global_store_dwordx2 v[1:2], v[29:30], off
	v_lshlrev_b64 v[1:2], 3, v[5:6]
	v_add_u32_e32 v5, 0x220, v8
	v_mad_u64_u32 v[3:4], s[2:3], s12, v5, 0
	v_add_co_u32_e32 v1, vcc, v7, v1
	v_mad_u64_u32 v[4:5], s[2:3], s13, v5, v[4:5]
	v_add_u32_e32 v5, 0x1dc, v0
	v_mul_hi_u32 v6, v5, s1
	v_addc_co_u32_e32 v2, vcc, v25, v2, vcc
	global_store_dwordx2 v[1:2], v[43:44], off
	v_lshrrev_b32_e32 v2, 9, v6
	v_mad_u32_u24 v5, v2, s0, v5
	v_lshlrev_b64 v[0:1], 3, v[3:4]
	v_mad_u64_u32 v[2:3], s[0:1], s12, v5, 0
	v_add_u32_e32 v6, 0x220, v5
	v_add_co_u32_e32 v0, vcc, v7, v0
	v_mad_u64_u32 v[3:4], s[0:1], s13, v5, v[3:4]
	v_mad_u64_u32 v[4:5], s[0:1], s12, v6, 0
	v_addc_co_u32_e32 v1, vcc, v25, v1, vcc
	global_store_dwordx2 v[0:1], v[26:27], off
	v_lshlrev_b64 v[0:1], 3, v[2:3]
	v_mov_b32_e32 v2, v5
	v_mad_u64_u32 v[2:3], s[0:1], s13, v6, v[2:3]
	v_add_co_u32_e32 v0, vcc, v7, v0
	v_addc_co_u32_e32 v1, vcc, v25, v1, vcc
	v_mov_b32_e32 v5, v2
	global_store_dwordx2 v[0:1], v[33:34], off
	v_lshlrev_b64 v[0:1], 3, v[4:5]
	v_add_co_u32_e32 v0, vcc, v7, v0
	v_addc_co_u32_e32 v1, vcc, v25, v1, vcc
	global_store_dwordx2 v[0:1], v[18:19], off
.LBB0_16:
	s_endpgm
	.section	.rodata,"a",@progbits
	.p2align	6, 0x0
	.amdhsa_kernel fft_rtc_back_len1088_factors_17_4_4_2_2_wgs_204_tpt_68_halfLds_sp_ip_CI_sbrr_dirReg
		.amdhsa_group_segment_fixed_size 0
		.amdhsa_private_segment_fixed_size 0
		.amdhsa_kernarg_size 88
		.amdhsa_user_sgpr_count 6
		.amdhsa_user_sgpr_private_segment_buffer 1
		.amdhsa_user_sgpr_dispatch_ptr 0
		.amdhsa_user_sgpr_queue_ptr 0
		.amdhsa_user_sgpr_kernarg_segment_ptr 1
		.amdhsa_user_sgpr_dispatch_id 0
		.amdhsa_user_sgpr_flat_scratch_init 0
		.amdhsa_user_sgpr_private_segment_size 0
		.amdhsa_uses_dynamic_stack 0
		.amdhsa_system_sgpr_private_segment_wavefront_offset 0
		.amdhsa_system_sgpr_workgroup_id_x 1
		.amdhsa_system_sgpr_workgroup_id_y 0
		.amdhsa_system_sgpr_workgroup_id_z 0
		.amdhsa_system_sgpr_workgroup_info 0
		.amdhsa_system_vgpr_workitem_id 0
		.amdhsa_next_free_vgpr 83
		.amdhsa_next_free_sgpr 24
		.amdhsa_reserve_vcc 1
		.amdhsa_reserve_flat_scratch 0
		.amdhsa_float_round_mode_32 0
		.amdhsa_float_round_mode_16_64 0
		.amdhsa_float_denorm_mode_32 3
		.amdhsa_float_denorm_mode_16_64 3
		.amdhsa_dx10_clamp 1
		.amdhsa_ieee_mode 1
		.amdhsa_fp16_overflow 0
		.amdhsa_exception_fp_ieee_invalid_op 0
		.amdhsa_exception_fp_denorm_src 0
		.amdhsa_exception_fp_ieee_div_zero 0
		.amdhsa_exception_fp_ieee_overflow 0
		.amdhsa_exception_fp_ieee_underflow 0
		.amdhsa_exception_fp_ieee_inexact 0
		.amdhsa_exception_int_div_zero 0
	.end_amdhsa_kernel
	.text
.Lfunc_end0:
	.size	fft_rtc_back_len1088_factors_17_4_4_2_2_wgs_204_tpt_68_halfLds_sp_ip_CI_sbrr_dirReg, .Lfunc_end0-fft_rtc_back_len1088_factors_17_4_4_2_2_wgs_204_tpt_68_halfLds_sp_ip_CI_sbrr_dirReg
                                        ; -- End function
	.section	.AMDGPU.csdata,"",@progbits
; Kernel info:
; codeLenInByte = 11968
; NumSgprs: 28
; NumVgprs: 83
; ScratchSize: 0
; MemoryBound: 0
; FloatMode: 240
; IeeeMode: 1
; LDSByteSize: 0 bytes/workgroup (compile time only)
; SGPRBlocks: 3
; VGPRBlocks: 20
; NumSGPRsForWavesPerEU: 28
; NumVGPRsForWavesPerEU: 83
; Occupancy: 3
; WaveLimiterHint : 1
; COMPUTE_PGM_RSRC2:SCRATCH_EN: 0
; COMPUTE_PGM_RSRC2:USER_SGPR: 6
; COMPUTE_PGM_RSRC2:TRAP_HANDLER: 0
; COMPUTE_PGM_RSRC2:TGID_X_EN: 1
; COMPUTE_PGM_RSRC2:TGID_Y_EN: 0
; COMPUTE_PGM_RSRC2:TGID_Z_EN: 0
; COMPUTE_PGM_RSRC2:TIDIG_COMP_CNT: 0
	.type	__hip_cuid_9465ab7bf26a6aff,@object ; @__hip_cuid_9465ab7bf26a6aff
	.section	.bss,"aw",@nobits
	.globl	__hip_cuid_9465ab7bf26a6aff
__hip_cuid_9465ab7bf26a6aff:
	.byte	0                               ; 0x0
	.size	__hip_cuid_9465ab7bf26a6aff, 1

	.ident	"AMD clang version 19.0.0git (https://github.com/RadeonOpenCompute/llvm-project roc-6.4.0 25133 c7fe45cf4b819c5991fe208aaa96edf142730f1d)"
	.section	".note.GNU-stack","",@progbits
	.addrsig
	.addrsig_sym __hip_cuid_9465ab7bf26a6aff
	.amdgpu_metadata
---
amdhsa.kernels:
  - .args:
      - .actual_access:  read_only
        .address_space:  global
        .offset:         0
        .size:           8
        .value_kind:     global_buffer
      - .offset:         8
        .size:           8
        .value_kind:     by_value
      - .actual_access:  read_only
        .address_space:  global
        .offset:         16
        .size:           8
        .value_kind:     global_buffer
      - .actual_access:  read_only
        .address_space:  global
        .offset:         24
        .size:           8
        .value_kind:     global_buffer
      - .offset:         32
        .size:           8
        .value_kind:     by_value
      - .actual_access:  read_only
        .address_space:  global
        .offset:         40
        .size:           8
        .value_kind:     global_buffer
      - .actual_access:  read_only
        .address_space:  global
        .offset:         48
        .size:           8
        .value_kind:     global_buffer
      - .offset:         56
        .size:           4
        .value_kind:     by_value
      - .actual_access:  read_only
        .address_space:  global
        .offset:         64
        .size:           8
        .value_kind:     global_buffer
      - .actual_access:  read_only
        .address_space:  global
        .offset:         72
        .size:           8
        .value_kind:     global_buffer
      - .address_space:  global
        .offset:         80
        .size:           8
        .value_kind:     global_buffer
    .group_segment_fixed_size: 0
    .kernarg_segment_align: 8
    .kernarg_segment_size: 88
    .language:       OpenCL C
    .language_version:
      - 2
      - 0
    .max_flat_workgroup_size: 204
    .name:           fft_rtc_back_len1088_factors_17_4_4_2_2_wgs_204_tpt_68_halfLds_sp_ip_CI_sbrr_dirReg
    .private_segment_fixed_size: 0
    .sgpr_count:     28
    .sgpr_spill_count: 0
    .symbol:         fft_rtc_back_len1088_factors_17_4_4_2_2_wgs_204_tpt_68_halfLds_sp_ip_CI_sbrr_dirReg.kd
    .uniform_work_group_size: 1
    .uses_dynamic_stack: false
    .vgpr_count:     83
    .vgpr_spill_count: 0
    .wavefront_size: 64
amdhsa.target:   amdgcn-amd-amdhsa--gfx906
amdhsa.version:
  - 1
  - 2
...

	.end_amdgpu_metadata
